;; amdgpu-corpus repo=ROCm/rocSPARSE kind=compiled arch=gfx1250 opt=O3
	.amdgcn_target "amdgcn-amd-amdhsa--gfx1250"
	.amdhsa_code_object_version 6
	.section	.text._ZN9rocsparse31csrmmnn_row_split_shared_kernelILj256ELj8EfiifffEEvNS_24const_host_device_scalarIT1_EES3_bbbT3_S4_llPKT2_PKS4_PKT4_PKT5_llPT6_ll16rocsparse_order_21rocsparse_index_base_,"axG",@progbits,_ZN9rocsparse31csrmmnn_row_split_shared_kernelILj256ELj8EfiifffEEvNS_24const_host_device_scalarIT1_EES3_bbbT3_S4_llPKT2_PKS4_PKT4_PKT5_llPT6_ll16rocsparse_order_21rocsparse_index_base_,comdat
	.protected	_ZN9rocsparse31csrmmnn_row_split_shared_kernelILj256ELj8EfiifffEEvNS_24const_host_device_scalarIT1_EES3_bbbT3_S4_llPKT2_PKS4_PKT4_PKT5_llPT6_ll16rocsparse_order_21rocsparse_index_base_ ; -- Begin function _ZN9rocsparse31csrmmnn_row_split_shared_kernelILj256ELj8EfiifffEEvNS_24const_host_device_scalarIT1_EES3_bbbT3_S4_llPKT2_PKS4_PKT4_PKT5_llPT6_ll16rocsparse_order_21rocsparse_index_base_
	.globl	_ZN9rocsparse31csrmmnn_row_split_shared_kernelILj256ELj8EfiifffEEvNS_24const_host_device_scalarIT1_EES3_bbbT3_S4_llPKT2_PKS4_PKT4_PKT5_llPT6_ll16rocsparse_order_21rocsparse_index_base_
	.p2align	8
	.type	_ZN9rocsparse31csrmmnn_row_split_shared_kernelILj256ELj8EfiifffEEvNS_24const_host_device_scalarIT1_EES3_bbbT3_S4_llPKT2_PKS4_PKT4_PKT5_llPT6_ll16rocsparse_order_21rocsparse_index_base_,@function
_ZN9rocsparse31csrmmnn_row_split_shared_kernelILj256ELj8EfiifffEEvNS_24const_host_device_scalarIT1_EES3_bbbT3_S4_llPKT2_PKS4_PKT4_PKT5_llPT6_ll16rocsparse_order_21rocsparse_index_base_: ; @_ZN9rocsparse31csrmmnn_row_split_shared_kernelILj256ELj8EfiifffEEvNS_24const_host_device_scalarIT1_EES3_bbbT3_S4_llPKT2_PKS4_PKT4_PKT5_llPT6_ll16rocsparse_order_21rocsparse_index_base_
; %bb.0:
	s_clause 0x1
	s_load_b96 s[24:26], s[0:1], 0x10
	s_load_b128 s[20:23], s[0:1], 0x0
	s_wait_kmcnt 0x0
	s_bitcmp1_b32 s24, 0
	s_cselect_b32 s2, -1, 0
	s_delay_alu instid0(SALU_CYCLE_1)
	s_and_b32 vcc_lo, exec_lo, s2
	s_xor_b32 s2, s2, -1
	s_cbranch_vccnz .LBB0_2
; %bb.1:
	s_load_b32 s20, s[20:21], 0x0
.LBB0_2:
	s_and_not1_b32 vcc_lo, exec_lo, s2
	s_cbranch_vccnz .LBB0_4
; %bb.3:
	s_load_b32 s22, s[22:23], 0x0
.LBB0_4:
	s_wait_kmcnt 0x0
	s_cmp_eq_f32 s20, 0
	s_cselect_b32 s2, -1, 0
	s_cmp_eq_f32 s22, 1.0
	s_cselect_b32 s3, -1, 0
	s_delay_alu instid0(SALU_CYCLE_1) | instskip(NEXT) | instid1(SALU_CYCLE_1)
	s_and_b32 s2, s2, s3
	s_and_b32 vcc_lo, exec_lo, s2
	s_cbranch_vccnz .LBB0_21
; %bb.5:
	s_bfe_u32 s2, ttmp6, 0x4000c
	s_and_b32 s3, ttmp6, 15
	s_add_co_i32 s2, s2, 1
	s_delay_alu instid0(SALU_CYCLE_1) | instskip(SKIP_4) | instid1(SALU_CYCLE_1)
	s_mul_i32 s4, ttmp9, s2
	s_getreg_b32 s2, hwreg(HW_REG_IB_STS2, 6, 4)
	s_add_co_i32 s3, s3, s4
	s_cmp_eq_u32 s2, 0
	s_cselect_b32 s3, ttmp9, s3
	v_lshl_or_b32 v1, s3, 8, v0
	s_mov_b32 s3, exec_lo
	s_delay_alu instid0(VALU_DEP_1) | instskip(NEXT) | instid1(VALU_DEP_1)
	v_lshrrev_b32_e32 v2, 3, v1
	v_cmpx_gt_i32_e64 s25, v2
	s_cbranch_execz .LBB0_21
; %bb.6:
	s_load_b512 s[4:19], s[0:1], 0x20
	s_bfe_u32 s21, ttmp6, 0x40014
	s_bfe_u32 s24, ttmp6, 0x40010
	s_lshr_b32 s3, ttmp7, 16
	s_and_b32 s27, ttmp7, 0xffff
	s_add_co_i32 s21, s21, 1
	s_add_co_i32 s24, s24, 1
	s_bfe_u32 s23, ttmp6, 0x40008
	s_bfe_u32 s25, ttmp6, 0x40004
	s_mul_i32 s21, s3, s21
	s_mul_i32 s24, s27, s24
	s_add_co_i32 s23, s23, s21
	s_add_co_i32 s21, s25, s24
	s_cmp_eq_u32 s2, 0
	s_mov_b32 s25, 0
	s_cselect_b32 s24, s3, s23
	v_dual_lshlrev_b32 v1, 2, v2 :: v_dual_bitop2_b32 v8, 7, v0 bitop3:0x40
	s_wait_kmcnt 0x0
	s_mul_u64 s[2:3], s[4:5], s[24:25]
	s_cselect_b32 s4, s27, s21
	s_lshl_b64 s[2:3], s[2:3], 2
	v_lshl_or_b32 v4, s4, 3, v8
	s_add_nc_u64 s[2:3], s[8:9], s[2:3]
	s_load_b64 s[8:9], s[0:1], 0x78
	global_load_b64 v[6:7], v1, s[2:3]
	v_dual_mov_b32 v3, 0 :: v_dual_ashrrev_i32 v5, 31, v4
	s_wait_xcnt 0x0
	s_mov_b32 s3, exec_lo
	s_delay_alu instid0(VALU_DEP_1)
	v_mov_b32_e32 v9, v3
	s_wait_loadcnt 0x0
	v_cmpx_lt_i32_e64 v6, v7
	s_cbranch_execz .LBB0_14
; %bb.7:
	v_mul_u64_e32 v[14:15], s[16:17], v[4:5]
	s_wait_kmcnt 0x0
	v_subrev_nc_u32_e32 v12, s9, v6
	v_dual_mov_b32 v9, 0 :: v_dual_lshlrev_b32 v6, 2, v8
	v_lshlrev_b32_e32 v0, 2, v0
	s_mul_u64 s[4:5], s[18:19], s[24:25]
	v_subrev_nc_u32_e32 v11, s9, v7
	v_cmp_gt_i32_e32 vcc_lo, s26, v4
	s_delay_alu instid0(VALU_DEP_3) | instskip(NEXT) | instid1(VALU_DEP_1)
	v_and_b32_e32 v10, 0x3e0, v0
	v_or_b32_e32 v13, 0x400, v10
	v_lshl_add_u64 v[0:1], v[14:15], 2, s[14:15]
	v_or_b32_e32 v14, v10, v6
	s_delay_alu instid0(VALU_DEP_3) | instskip(NEXT) | instid1(VALU_DEP_3)
	v_or_b32_e32 v15, v13, v6
	v_lshl_add_u64 v[0:1], s[4:5], 2, v[0:1]
	s_mul_u64 s[4:5], s[6:7], s[24:25]
	s_mov_b32 s6, s25
	s_branch .LBB0_9
.LBB0_8:                                ;   in Loop: Header=BB0_9 Depth=1
	s_or_b32 exec_lo, exec_lo, s2
	v_add_nc_u32_e32 v12, 8, v12
	s_delay_alu instid0(VALU_DEP_1) | instskip(SKIP_1) | instid1(SALU_CYCLE_1)
	v_cmp_ge_i32_e64 s2, v12, v11
	s_or_b32 s6, s2, s6
	s_and_not1_b32 exec_lo, exec_lo, s6
	s_cbranch_execz .LBB0_13
.LBB0_9:                                ; =>This Inner Loop Header: Depth=1
	v_dual_add_nc_u32 v6, v8, v12 :: v_dual_mov_b32 v16, 0
	v_mov_b32_e32 v7, 0
	s_mov_b32 s7, exec_lo
	s_barrier_signal -1
	s_barrier_wait -1
	v_cmpx_lt_i32_e64 v6, v11
	s_cbranch_execz .LBB0_11
; %bb.10:                               ;   in Loop: Header=BB0_9 Depth=1
	v_ashrrev_i32_e32 v7, 31, v6
	s_delay_alu instid0(VALU_DEP_1) | instskip(NEXT) | instid1(VALU_DEP_1)
	v_add_nc_u64_e32 v[6:7], s[4:5], v[6:7]
	v_lshlrev_b64_e32 v[6:7], 2, v[6:7]
	s_delay_alu instid0(VALU_DEP_1)
	v_add_nc_u64_e32 v[16:17], s[10:11], v[6:7]
	v_add_nc_u64_e32 v[18:19], s[12:13], v[6:7]
	global_load_b32 v6, v[16:17], off
	global_load_b32 v7, v[18:19], off
	s_wait_loadcnt 0x1
	s_wait_xcnt 0x1
	v_subrev_nc_u32_e32 v16, s9, v6
.LBB0_11:                               ;   in Loop: Header=BB0_9 Depth=1
	s_wait_xcnt 0x0
	s_or_b32 exec_lo, exec_lo, s7
	ds_store_b32 v14, v16
	s_wait_loadcnt 0x0
	ds_store_b32 v15, v7
	s_wait_dscnt 0x0
	s_barrier_signal -1
	s_barrier_wait -1
	s_and_saveexec_b32 s2, vcc_lo
	s_cbranch_execz .LBB0_8
; %bb.12:                               ;   in Loop: Header=BB0_9 Depth=1
	ds_load_b128 v[16:19], v10
	ds_load_b128 v[20:23], v10 offset:16
	s_wait_dscnt 0x1
	v_dual_mov_b32 v6, v16 :: v_dual_ashrrev_i32 v7, 31, v16
	v_dual_mov_b32 v24, v17 :: v_dual_ashrrev_i32 v25, 31, v17
	;; [unrolled: 1-line block ×3, first 2 shown]
	s_delay_alu instid0(VALU_DEP_3) | instskip(SKIP_2) | instid1(VALU_DEP_3)
	v_lshl_add_u64 v[6:7], v[6:7], 2, v[0:1]
	s_wait_dscnt 0x0
	v_mov_b32_e32 v18, v21
	v_lshl_add_u64 v[16:17], v[16:17], 2, v[0:1]
	global_load_b32 v26, v[6:7], off
	s_wait_xcnt 0x0
	v_lshl_add_u64 v[6:7], v[24:25], 2, v[0:1]
	v_dual_mov_b32 v24, v19 :: v_dual_ashrrev_i32 v25, 31, v19
	s_clause 0x1
	global_load_b32 v27, v[6:7], off
	global_load_b32 v28, v[16:17], off
	s_wait_xcnt 0x0
	v_dual_mov_b32 v16, v20 :: v_dual_ashrrev_i32 v17, 31, v20
	v_lshl_add_u64 v[6:7], v[24:25], 2, v[0:1]
	v_ashrrev_i32_e32 v19, 31, v21
	global_load_b32 v24, v[6:7], off
	s_wait_xcnt 0x0
	v_lshl_add_u64 v[6:7], v[16:17], 2, v[0:1]
	v_lshl_add_u64 v[16:17], v[18:19], 2, v[0:1]
	v_dual_mov_b32 v18, v22 :: v_dual_ashrrev_i32 v19, 31, v22
	s_clause 0x1
	global_load_b32 v25, v[6:7], off
	global_load_b32 v29, v[16:17], off
	s_wait_xcnt 0x1
	v_dual_mov_b32 v6, v23 :: v_dual_ashrrev_i32 v7, 31, v23
	s_wait_xcnt 0x0
	v_lshl_add_u64 v[16:17], v[18:19], 2, v[0:1]
	s_delay_alu instid0(VALU_DEP_2)
	v_lshl_add_u64 v[6:7], v[6:7], 2, v[0:1]
	s_clause 0x1
	global_load_b32 v30, v[16:17], off
	global_load_b32 v31, v[6:7], off
	s_wait_xcnt 0x1
	ds_load_b128 v[16:19], v13
	ds_load_b128 v[20:23], v13 offset:16
	s_wait_loadcnt_dscnt 0x701
	v_fmac_f32_e32 v9, v16, v26
	s_wait_loadcnt 0x6
	s_delay_alu instid0(VALU_DEP_1) | instskip(SKIP_1) | instid1(VALU_DEP_1)
	v_fmac_f32_e32 v9, v17, v27
	s_wait_loadcnt 0x5
	v_fmac_f32_e32 v9, v18, v28
	s_wait_loadcnt 0x4
	s_delay_alu instid0(VALU_DEP_1) | instskip(SKIP_1) | instid1(VALU_DEP_1)
	v_fmac_f32_e32 v9, v19, v24
	s_wait_loadcnt_dscnt 0x300
	v_fmac_f32_e32 v9, v20, v25
	s_wait_loadcnt 0x2
	s_delay_alu instid0(VALU_DEP_1) | instskip(SKIP_1) | instid1(VALU_DEP_1)
	v_fmac_f32_e32 v9, v21, v29
	s_wait_loadcnt 0x1
	v_fmac_f32_e32 v9, v22, v30
	s_wait_loadcnt 0x0
	s_delay_alu instid0(VALU_DEP_1)
	v_fmac_f32_e32 v9, v23, v31
	s_branch .LBB0_8
.LBB0_13:
	s_or_b32 exec_lo, exec_lo, s6
.LBB0_14:
	s_delay_alu instid0(SALU_CYCLE_1)
	s_or_b32 exec_lo, exec_lo, s3
	v_cmp_gt_i32_e32 vcc_lo, s26, v4
	s_and_b32 exec_lo, exec_lo, vcc_lo
	s_cbranch_execz .LBB0_21
; %bb.15:
	s_clause 0x1
	s_load_b64 s[10:11], s[0:1], 0x70
	s_load_b128 s[4:7], s[0:1], 0x60
	s_wait_kmcnt 0x0
	s_cmp_lg_u32 s8, 1
	v_mul_f32_e32 v0, s20, v9
	s_cselect_b32 s2, -1, 0
	s_cmp_neq_f32 s22, 0
	s_mul_u64 s[0:1], s[10:11], s[24:25]
	s_cbranch_scc0 .LBB0_22
; %bb.16:
	s_and_b32 vcc_lo, exec_lo, s2
	s_mov_b32 s3, -1
	s_cbranch_vccz .LBB0_18
; %bb.17:
	v_mul_u64_e32 v[6:7], s[6:7], v[2:3]
	s_mov_b32 s3, 0
	s_delay_alu instid0(VALU_DEP_1) | instskip(NEXT) | instid1(VALU_DEP_1)
	v_lshl_add_u64 v[6:7], v[6:7], 2, s[4:5]
	v_lshl_add_u64 v[6:7], v[4:5], 2, v[6:7]
	s_delay_alu instid0(VALU_DEP_1)
	v_lshl_add_u64 v[6:7], s[0:1], 2, v[6:7]
	global_load_b32 v1, v[6:7], off
	s_wait_loadcnt 0x0
	v_fma_f32 v1, s22, v1, v0
	global_store_b32 v[6:7], v1, off
.LBB0_18:
	s_and_not1_b32 vcc_lo, exec_lo, s3
	s_cbranch_vccnz .LBB0_20
; %bb.19:
	s_wait_xcnt 0x0
	v_mul_u64_e32 v[6:7], s[6:7], v[4:5]
	v_dual_mov_b32 v9, 0 :: v_dual_lshlrev_b32 v8, 2, v2
	s_delay_alu instid0(VALU_DEP_2) | instskip(NEXT) | instid1(VALU_DEP_1)
	v_lshl_add_u64 v[6:7], v[6:7], 2, s[4:5]
	v_add_nc_u64_e32 v[6:7], v[6:7], v[8:9]
	s_delay_alu instid0(VALU_DEP_1)
	v_lshl_add_u64 v[6:7], s[0:1], 2, v[6:7]
	global_load_b32 v1, v[6:7], off
	s_wait_loadcnt 0x0
	v_fma_f32 v1, s22, v1, v0
	global_store_b32 v[6:7], v1, off
.LBB0_20:
	s_cbranch_execz .LBB0_23
.LBB0_21:
	s_endpgm
.LBB0_22:
.LBB0_23:
	s_and_b32 vcc_lo, exec_lo, s2
	s_mov_b32 s2, -1
	s_cbranch_vccz .LBB0_25
; %bb.24:
	s_wait_xcnt 0x0
	v_mul_u64_e32 v[6:7], s[6:7], v[2:3]
	s_mov_b32 s2, 0
	s_delay_alu instid0(VALU_DEP_1) | instskip(NEXT) | instid1(VALU_DEP_1)
	v_lshl_add_u64 v[6:7], v[6:7], 2, s[4:5]
	v_lshl_add_u64 v[6:7], v[4:5], 2, v[6:7]
	s_delay_alu instid0(VALU_DEP_1)
	v_lshl_add_u64 v[6:7], s[0:1], 2, v[6:7]
	global_store_b32 v[6:7], v0, off
.LBB0_25:
	s_and_not1_b32 vcc_lo, exec_lo, s2
	s_cbranch_vccnz .LBB0_21
; %bb.26:
	v_mul_u64_e32 v[4:5], s[6:7], v[4:5]
	v_dual_mov_b32 v3, 0 :: v_dual_lshlrev_b32 v2, 2, v2
	s_delay_alu instid0(VALU_DEP_2) | instskip(NEXT) | instid1(VALU_DEP_1)
	v_lshl_add_u64 v[4:5], v[4:5], 2, s[4:5]
	v_add_nc_u64_e32 v[2:3], v[4:5], v[2:3]
	s_delay_alu instid0(VALU_DEP_1)
	v_lshl_add_u64 v[2:3], s[0:1], 2, v[2:3]
	global_store_b32 v[2:3], v0, off
	s_endpgm
	.section	.rodata,"a",@progbits
	.p2align	6, 0x0
	.amdhsa_kernel _ZN9rocsparse31csrmmnn_row_split_shared_kernelILj256ELj8EfiifffEEvNS_24const_host_device_scalarIT1_EES3_bbbT3_S4_llPKT2_PKS4_PKT4_PKT5_llPT6_ll16rocsparse_order_21rocsparse_index_base_
		.amdhsa_group_segment_fixed_size 2048
		.amdhsa_private_segment_fixed_size 0
		.amdhsa_kernarg_size 128
		.amdhsa_user_sgpr_count 2
		.amdhsa_user_sgpr_dispatch_ptr 0
		.amdhsa_user_sgpr_queue_ptr 0
		.amdhsa_user_sgpr_kernarg_segment_ptr 1
		.amdhsa_user_sgpr_dispatch_id 0
		.amdhsa_user_sgpr_kernarg_preload_length 0
		.amdhsa_user_sgpr_kernarg_preload_offset 0
		.amdhsa_user_sgpr_private_segment_size 0
		.amdhsa_wavefront_size32 1
		.amdhsa_uses_dynamic_stack 0
		.amdhsa_enable_private_segment 0
		.amdhsa_system_sgpr_workgroup_id_x 1
		.amdhsa_system_sgpr_workgroup_id_y 1
		.amdhsa_system_sgpr_workgroup_id_z 1
		.amdhsa_system_sgpr_workgroup_info 0
		.amdhsa_system_vgpr_workitem_id 0
		.amdhsa_next_free_vgpr 32
		.amdhsa_next_free_sgpr 28
		.amdhsa_named_barrier_count 0
		.amdhsa_reserve_vcc 1
		.amdhsa_float_round_mode_32 0
		.amdhsa_float_round_mode_16_64 0
		.amdhsa_float_denorm_mode_32 3
		.amdhsa_float_denorm_mode_16_64 3
		.amdhsa_fp16_overflow 0
		.amdhsa_memory_ordered 1
		.amdhsa_forward_progress 1
		.amdhsa_inst_pref_size 12
		.amdhsa_round_robin_scheduling 0
		.amdhsa_exception_fp_ieee_invalid_op 0
		.amdhsa_exception_fp_denorm_src 0
		.amdhsa_exception_fp_ieee_div_zero 0
		.amdhsa_exception_fp_ieee_overflow 0
		.amdhsa_exception_fp_ieee_underflow 0
		.amdhsa_exception_fp_ieee_inexact 0
		.amdhsa_exception_int_div_zero 0
	.end_amdhsa_kernel
	.section	.text._ZN9rocsparse31csrmmnn_row_split_shared_kernelILj256ELj8EfiifffEEvNS_24const_host_device_scalarIT1_EES3_bbbT3_S4_llPKT2_PKS4_PKT4_PKT5_llPT6_ll16rocsparse_order_21rocsparse_index_base_,"axG",@progbits,_ZN9rocsparse31csrmmnn_row_split_shared_kernelILj256ELj8EfiifffEEvNS_24const_host_device_scalarIT1_EES3_bbbT3_S4_llPKT2_PKS4_PKT4_PKT5_llPT6_ll16rocsparse_order_21rocsparse_index_base_,comdat
.Lfunc_end0:
	.size	_ZN9rocsparse31csrmmnn_row_split_shared_kernelILj256ELj8EfiifffEEvNS_24const_host_device_scalarIT1_EES3_bbbT3_S4_llPKT2_PKS4_PKT4_PKT5_llPT6_ll16rocsparse_order_21rocsparse_index_base_, .Lfunc_end0-_ZN9rocsparse31csrmmnn_row_split_shared_kernelILj256ELj8EfiifffEEvNS_24const_host_device_scalarIT1_EES3_bbbT3_S4_llPKT2_PKS4_PKT4_PKT5_llPT6_ll16rocsparse_order_21rocsparse_index_base_
                                        ; -- End function
	.set _ZN9rocsparse31csrmmnn_row_split_shared_kernelILj256ELj8EfiifffEEvNS_24const_host_device_scalarIT1_EES3_bbbT3_S4_llPKT2_PKS4_PKT4_PKT5_llPT6_ll16rocsparse_order_21rocsparse_index_base_.num_vgpr, 32
	.set _ZN9rocsparse31csrmmnn_row_split_shared_kernelILj256ELj8EfiifffEEvNS_24const_host_device_scalarIT1_EES3_bbbT3_S4_llPKT2_PKS4_PKT4_PKT5_llPT6_ll16rocsparse_order_21rocsparse_index_base_.num_agpr, 0
	.set _ZN9rocsparse31csrmmnn_row_split_shared_kernelILj256ELj8EfiifffEEvNS_24const_host_device_scalarIT1_EES3_bbbT3_S4_llPKT2_PKS4_PKT4_PKT5_llPT6_ll16rocsparse_order_21rocsparse_index_base_.numbered_sgpr, 28
	.set _ZN9rocsparse31csrmmnn_row_split_shared_kernelILj256ELj8EfiifffEEvNS_24const_host_device_scalarIT1_EES3_bbbT3_S4_llPKT2_PKS4_PKT4_PKT5_llPT6_ll16rocsparse_order_21rocsparse_index_base_.num_named_barrier, 0
	.set _ZN9rocsparse31csrmmnn_row_split_shared_kernelILj256ELj8EfiifffEEvNS_24const_host_device_scalarIT1_EES3_bbbT3_S4_llPKT2_PKS4_PKT4_PKT5_llPT6_ll16rocsparse_order_21rocsparse_index_base_.private_seg_size, 0
	.set _ZN9rocsparse31csrmmnn_row_split_shared_kernelILj256ELj8EfiifffEEvNS_24const_host_device_scalarIT1_EES3_bbbT3_S4_llPKT2_PKS4_PKT4_PKT5_llPT6_ll16rocsparse_order_21rocsparse_index_base_.uses_vcc, 1
	.set _ZN9rocsparse31csrmmnn_row_split_shared_kernelILj256ELj8EfiifffEEvNS_24const_host_device_scalarIT1_EES3_bbbT3_S4_llPKT2_PKS4_PKT4_PKT5_llPT6_ll16rocsparse_order_21rocsparse_index_base_.uses_flat_scratch, 0
	.set _ZN9rocsparse31csrmmnn_row_split_shared_kernelILj256ELj8EfiifffEEvNS_24const_host_device_scalarIT1_EES3_bbbT3_S4_llPKT2_PKS4_PKT4_PKT5_llPT6_ll16rocsparse_order_21rocsparse_index_base_.has_dyn_sized_stack, 0
	.set _ZN9rocsparse31csrmmnn_row_split_shared_kernelILj256ELj8EfiifffEEvNS_24const_host_device_scalarIT1_EES3_bbbT3_S4_llPKT2_PKS4_PKT4_PKT5_llPT6_ll16rocsparse_order_21rocsparse_index_base_.has_recursion, 0
	.set _ZN9rocsparse31csrmmnn_row_split_shared_kernelILj256ELj8EfiifffEEvNS_24const_host_device_scalarIT1_EES3_bbbT3_S4_llPKT2_PKS4_PKT4_PKT5_llPT6_ll16rocsparse_order_21rocsparse_index_base_.has_indirect_call, 0
	.section	.AMDGPU.csdata,"",@progbits
; Kernel info:
; codeLenInByte = 1432
; TotalNumSgprs: 30
; NumVgprs: 32
; ScratchSize: 0
; MemoryBound: 0
; FloatMode: 240
; IeeeMode: 1
; LDSByteSize: 2048 bytes/workgroup (compile time only)
; SGPRBlocks: 0
; VGPRBlocks: 1
; NumSGPRsForWavesPerEU: 30
; NumVGPRsForWavesPerEU: 32
; NamedBarCnt: 0
; Occupancy: 16
; WaveLimiterHint : 1
; COMPUTE_PGM_RSRC2:SCRATCH_EN: 0
; COMPUTE_PGM_RSRC2:USER_SGPR: 2
; COMPUTE_PGM_RSRC2:TRAP_HANDLER: 0
; COMPUTE_PGM_RSRC2:TGID_X_EN: 1
; COMPUTE_PGM_RSRC2:TGID_Y_EN: 1
; COMPUTE_PGM_RSRC2:TGID_Z_EN: 1
; COMPUTE_PGM_RSRC2:TIDIG_COMP_CNT: 0
	.section	.text._ZN9rocsparse31csrmmnn_row_split_shared_kernelILj256ELj8EflifffEEvNS_24const_host_device_scalarIT1_EES3_bbbT3_S4_llPKT2_PKS4_PKT4_PKT5_llPT6_ll16rocsparse_order_21rocsparse_index_base_,"axG",@progbits,_ZN9rocsparse31csrmmnn_row_split_shared_kernelILj256ELj8EflifffEEvNS_24const_host_device_scalarIT1_EES3_bbbT3_S4_llPKT2_PKS4_PKT4_PKT5_llPT6_ll16rocsparse_order_21rocsparse_index_base_,comdat
	.protected	_ZN9rocsparse31csrmmnn_row_split_shared_kernelILj256ELj8EflifffEEvNS_24const_host_device_scalarIT1_EES3_bbbT3_S4_llPKT2_PKS4_PKT4_PKT5_llPT6_ll16rocsparse_order_21rocsparse_index_base_ ; -- Begin function _ZN9rocsparse31csrmmnn_row_split_shared_kernelILj256ELj8EflifffEEvNS_24const_host_device_scalarIT1_EES3_bbbT3_S4_llPKT2_PKS4_PKT4_PKT5_llPT6_ll16rocsparse_order_21rocsparse_index_base_
	.globl	_ZN9rocsparse31csrmmnn_row_split_shared_kernelILj256ELj8EflifffEEvNS_24const_host_device_scalarIT1_EES3_bbbT3_S4_llPKT2_PKS4_PKT4_PKT5_llPT6_ll16rocsparse_order_21rocsparse_index_base_
	.p2align	8
	.type	_ZN9rocsparse31csrmmnn_row_split_shared_kernelILj256ELj8EflifffEEvNS_24const_host_device_scalarIT1_EES3_bbbT3_S4_llPKT2_PKS4_PKT4_PKT5_llPT6_ll16rocsparse_order_21rocsparse_index_base_,@function
_ZN9rocsparse31csrmmnn_row_split_shared_kernelILj256ELj8EflifffEEvNS_24const_host_device_scalarIT1_EES3_bbbT3_S4_llPKT2_PKS4_PKT4_PKT5_llPT6_ll16rocsparse_order_21rocsparse_index_base_: ; @_ZN9rocsparse31csrmmnn_row_split_shared_kernelILj256ELj8EflifffEEvNS_24const_host_device_scalarIT1_EES3_bbbT3_S4_llPKT2_PKS4_PKT4_PKT5_llPT6_ll16rocsparse_order_21rocsparse_index_base_
; %bb.0:
	s_clause 0x1
	s_load_b96 s[24:26], s[0:1], 0x10
	s_load_b128 s[20:23], s[0:1], 0x0
	s_wait_kmcnt 0x0
	s_bitcmp1_b32 s24, 0
	s_cselect_b32 s2, -1, 0
	s_delay_alu instid0(SALU_CYCLE_1)
	s_and_b32 vcc_lo, exec_lo, s2
	s_xor_b32 s2, s2, -1
	s_cbranch_vccnz .LBB1_2
; %bb.1:
	s_load_b32 s20, s[20:21], 0x0
.LBB1_2:
	s_and_not1_b32 vcc_lo, exec_lo, s2
	s_cbranch_vccnz .LBB1_4
; %bb.3:
	s_load_b32 s22, s[22:23], 0x0
.LBB1_4:
	s_wait_kmcnt 0x0
	s_cmp_eq_f32 s20, 0
	s_cselect_b32 s2, -1, 0
	s_cmp_eq_f32 s22, 1.0
	s_cselect_b32 s3, -1, 0
	s_delay_alu instid0(SALU_CYCLE_1) | instskip(NEXT) | instid1(SALU_CYCLE_1)
	s_and_b32 s2, s2, s3
	s_and_b32 vcc_lo, exec_lo, s2
	s_cbranch_vccnz .LBB1_21
; %bb.5:
	s_bfe_u32 s2, ttmp6, 0x4000c
	s_and_b32 s3, ttmp6, 15
	s_add_co_i32 s2, s2, 1
	s_delay_alu instid0(SALU_CYCLE_1) | instskip(SKIP_4) | instid1(SALU_CYCLE_1)
	s_mul_i32 s4, ttmp9, s2
	s_getreg_b32 s2, hwreg(HW_REG_IB_STS2, 6, 4)
	s_add_co_i32 s3, s3, s4
	s_cmp_eq_u32 s2, 0
	s_cselect_b32 s3, ttmp9, s3
	v_lshl_or_b32 v1, s3, 8, v0
	s_mov_b32 s3, exec_lo
	s_delay_alu instid0(VALU_DEP_1) | instskip(NEXT) | instid1(VALU_DEP_1)
	v_lshrrev_b32_e32 v6, 3, v1
	v_cmpx_gt_i32_e64 s25, v6
	s_cbranch_execz .LBB1_21
; %bb.6:
	s_load_b512 s[4:19], s[0:1], 0x20
	s_bfe_u32 s3, ttmp6, 0x40014
	s_bfe_u32 s23, ttmp6, 0x40010
	s_lshr_b32 s21, ttmp7, 16
	s_add_co_i32 s3, s3, 1
	s_and_b32 s27, ttmp7, 0xffff
	s_add_co_i32 s23, s23, 1
	s_mul_i32 s3, s21, s3
	s_bfe_u32 s24, ttmp6, 0x40008
	s_mul_i32 s23, s27, s23
	s_bfe_u32 s25, ttmp6, 0x40004
	s_add_co_i32 s24, s24, s3
	s_add_co_i32 s3, s25, s23
	s_cmp_eq_u32 s2, 0
	s_mov_b32 s25, 0
	s_cselect_b32 s24, s21, s24
	s_cselect_b32 s21, s27, s3
	v_dual_lshlrev_b32 v1, 3, v6 :: v_dual_bitop2_b32 v10, 7, v0 bitop3:0x40
	s_wait_kmcnt 0x0
	s_mul_u64 s[2:3], s[4:5], s[24:25]
	s_delay_alu instid0(SALU_CYCLE_1) | instskip(NEXT) | instid1(VALU_DEP_1)
	s_lshl_b64 s[2:3], s[2:3], 3
	v_lshl_or_b32 v8, s21, 3, v10
	s_add_nc_u64 s[2:3], s[8:9], s[2:3]
	s_load_b64 s[8:9], s[0:1], 0x78
	global_load_b128 v[2:5], v1, s[2:3]
	v_dual_mov_b32 v7, 0 :: v_dual_ashrrev_i32 v9, 31, v8
	s_wait_xcnt 0x0
	s_mov_b32 s3, exec_lo
	s_delay_alu instid0(VALU_DEP_1)
	v_mov_b32_e32 v16, v7
	s_wait_loadcnt 0x0
	v_cmpx_lt_i64_e64 v[2:3], v[4:5]
	s_cbranch_execz .LBB1_14
; %bb.7:
	v_mad_nc_u64_u32 v[12:13], s6, s24, v[2:3]
	v_mul_u64_e32 v[14:15], s[16:17], v[8:9]
	v_dual_mov_b32 v11, 0 :: v_dual_lshlrev_b32 v16, 2, v0
	s_wait_kmcnt 0x0
	s_mov_b32 s4, s9
	s_mov_b32 s5, s25
	v_cmp_gt_i32_e32 vcc_lo, s26, v8
	v_sub_nc_u64_e64 v[2:3], v[2:3], s[4:5]
	v_and_b32_e32 v17, 0x3e0, v16
	v_lshlrev_b32_e32 v16, 2, v10
	v_mad_u32 v13, s7, s24, v13
	s_mul_u64 s[6:7], s[18:19], s[24:25]
	s_delay_alu instid0(VALU_DEP_3) | instskip(NEXT) | instid1(VALU_DEP_3)
	v_or_b32_e32 v18, 0x400, v17
	v_or_b32_e32 v19, v17, v16
	s_delay_alu instid0(VALU_DEP_2) | instskip(NEXT) | instid1(VALU_DEP_4)
	v_dual_mov_b32 v16, v11 :: v_dual_bitop2_b32 v20, v18, v16 bitop3:0x54
	v_add_nc_u64_e32 v[12:13], v[12:13], v[10:11]
	s_delay_alu instid0(VALU_DEP_1) | instskip(SKIP_1) | instid1(VALU_DEP_2)
	v_sub_nc_u64_e64 v[0:1], v[12:13], s[4:5]
	v_lshl_add_u64 v[14:15], v[14:15], 2, s[14:15]
	v_lshlrev_b64_e32 v[12:13], 2, v[0:1]
	v_sub_nc_u64_e64 v[0:1], v[4:5], s[4:5]
	s_delay_alu instid0(VALU_DEP_3) | instskip(SKIP_1) | instid1(VALU_DEP_3)
	v_lshl_add_u64 v[14:15], s[6:7], 2, v[14:15]
	s_mov_b32 s4, s25
	v_add_nc_u64_e32 v[4:5], s[10:11], v[12:13]
	v_add_nc_u64_e32 v[12:13], s[12:13], v[12:13]
	s_branch .LBB1_9
.LBB1_8:                                ;   in Loop: Header=BB1_9 Depth=1
	s_or_b32 exec_lo, exec_lo, s2
	v_add_nc_u64_e32 v[2:3], 8, v[2:3]
	v_add_nc_u64_e32 v[4:5], 32, v[4:5]
	;; [unrolled: 1-line block ×3, first 2 shown]
	s_delay_alu instid0(VALU_DEP_3) | instskip(SKIP_1) | instid1(SALU_CYCLE_1)
	v_cmp_ge_i64_e64 s2, v[2:3], v[0:1]
	s_or_b32 s4, s2, s4
	s_and_not1_b32 exec_lo, exec_lo, s4
	s_cbranch_execz .LBB1_13
.LBB1_9:                                ; =>This Inner Loop Header: Depth=1
	v_add_nc_u64_e32 v[22:23], v[10:11], v[2:3]
	s_barrier_signal -1
	s_barrier_wait -1
	v_mov_b32_e32 v21, 0
	s_delay_alu instid0(VALU_DEP_2)
	v_cmp_lt_i64_e64 s2, v[22:23], v[0:1]
	v_mov_b32_e32 v22, 0
	s_and_saveexec_b32 s5, s2
	s_cbranch_execz .LBB1_11
; %bb.10:                               ;   in Loop: Header=BB1_9 Depth=1
	global_load_b32 v22, v[4:5], off
	global_load_b32 v21, v[12:13], off
	s_wait_loadcnt 0x1
	v_subrev_nc_u32_e32 v22, s9, v22
.LBB1_11:                               ;   in Loop: Header=BB1_9 Depth=1
	s_wait_xcnt 0x0
	s_or_b32 exec_lo, exec_lo, s5
	ds_store_b32 v19, v22
	s_wait_loadcnt 0x0
	ds_store_b32 v20, v21
	s_wait_dscnt 0x0
	s_barrier_signal -1
	s_barrier_wait -1
	s_and_saveexec_b32 s2, vcc_lo
	s_cbranch_execz .LBB1_8
; %bb.12:                               ;   in Loop: Header=BB1_9 Depth=1
	ds_load_b128 v[22:25], v17
	ds_load_b128 v[26:29], v17 offset:16
	s_wait_dscnt 0x1
	v_dual_mov_b32 v30, v22 :: v_dual_ashrrev_i32 v31, 31, v22
	v_dual_mov_b32 v32, v23 :: v_dual_ashrrev_i32 v33, 31, v23
	s_delay_alu instid0(VALU_DEP_2)
	v_lshl_add_u64 v[22:23], v[30:31], 2, v[14:15]
	v_dual_mov_b32 v30, v24 :: v_dual_ashrrev_i32 v31, 31, v24
	s_wait_dscnt 0x0
	v_mov_b32_e32 v24, v26
	global_load_b32 v21, v[22:23], off
	s_wait_xcnt 0x0
	v_lshl_add_u64 v[22:23], v[32:33], 2, v[14:15]
	v_lshl_add_u64 v[30:31], v[30:31], 2, v[14:15]
	v_dual_mov_b32 v32, v25 :: v_dual_ashrrev_i32 v33, 31, v25
	s_clause 0x1
	global_load_b32 v34, v[22:23], off
	global_load_b32 v35, v[30:31], off
	s_wait_xcnt 0x0
	v_dual_ashrrev_i32 v25, 31, v26 :: v_dual_ashrrev_i32 v31, 31, v27
	v_mov_b32_e32 v30, v27
	v_lshl_add_u64 v[22:23], v[32:33], 2, v[14:15]
	v_dual_mov_b32 v26, v28 :: v_dual_ashrrev_i32 v27, 31, v28
	global_load_b32 v32, v[22:23], off
	s_wait_xcnt 0x0
	v_lshl_add_u64 v[22:23], v[24:25], 2, v[14:15]
	v_lshl_add_u64 v[24:25], v[30:31], 2, v[14:15]
	s_clause 0x1
	global_load_b32 v30, v[22:23], off
	global_load_b32 v31, v[24:25], off
	s_wait_xcnt 0x1
	v_dual_mov_b32 v22, v29 :: v_dual_ashrrev_i32 v23, 31, v29
	s_wait_xcnt 0x0
	v_lshl_add_u64 v[24:25], v[26:27], 2, v[14:15]
	s_delay_alu instid0(VALU_DEP_2)
	v_lshl_add_u64 v[22:23], v[22:23], 2, v[14:15]
	s_clause 0x1
	global_load_b32 v33, v[24:25], off
	global_load_b32 v36, v[22:23], off
	s_wait_xcnt 0x0
	ds_load_b128 v[22:25], v18
	ds_load_b128 v[26:29], v18 offset:16
	s_wait_loadcnt_dscnt 0x701
	v_fmac_f32_e32 v16, v22, v21
	s_wait_loadcnt 0x6
	s_delay_alu instid0(VALU_DEP_1) | instskip(SKIP_1) | instid1(VALU_DEP_1)
	v_fmac_f32_e32 v16, v23, v34
	s_wait_loadcnt 0x5
	v_fmac_f32_e32 v16, v24, v35
	s_wait_loadcnt 0x4
	s_delay_alu instid0(VALU_DEP_1) | instskip(SKIP_1) | instid1(VALU_DEP_1)
	v_fmac_f32_e32 v16, v25, v32
	s_wait_loadcnt_dscnt 0x300
	v_fmac_f32_e32 v16, v26, v30
	s_wait_loadcnt 0x2
	s_delay_alu instid0(VALU_DEP_1) | instskip(SKIP_1) | instid1(VALU_DEP_1)
	v_fmac_f32_e32 v16, v27, v31
	s_wait_loadcnt 0x1
	v_fmac_f32_e32 v16, v28, v33
	s_wait_loadcnt 0x0
	s_delay_alu instid0(VALU_DEP_1)
	v_fmac_f32_e32 v16, v29, v36
	s_branch .LBB1_8
.LBB1_13:
	s_or_b32 exec_lo, exec_lo, s4
.LBB1_14:
	s_delay_alu instid0(SALU_CYCLE_1)
	s_or_b32 exec_lo, exec_lo, s3
	v_cmp_gt_i32_e32 vcc_lo, s26, v8
	s_and_b32 exec_lo, exec_lo, vcc_lo
	s_cbranch_execz .LBB1_21
; %bb.15:
	s_clause 0x1
	s_load_b64 s[10:11], s[0:1], 0x70
	s_load_b128 s[4:7], s[0:1], 0x60
	s_wait_kmcnt 0x0
	s_cmp_lg_u32 s8, 1
	v_mul_f32_e32 v0, s20, v16
	s_cselect_b32 s2, -1, 0
	s_cmp_neq_f32 s22, 0
	s_mul_u64 s[0:1], s[10:11], s[24:25]
	s_cbranch_scc0 .LBB1_22
; %bb.16:
	s_and_b32 vcc_lo, exec_lo, s2
	s_mov_b32 s3, -1
	s_cbranch_vccz .LBB1_18
; %bb.17:
	v_mul_u64_e32 v[2:3], s[6:7], v[6:7]
	s_mov_b32 s3, 0
	s_delay_alu instid0(VALU_DEP_1) | instskip(NEXT) | instid1(VALU_DEP_1)
	v_lshl_add_u64 v[2:3], v[2:3], 2, s[4:5]
	v_lshl_add_u64 v[2:3], v[8:9], 2, v[2:3]
	s_delay_alu instid0(VALU_DEP_1)
	v_lshl_add_u64 v[2:3], s[0:1], 2, v[2:3]
	global_load_b32 v1, v[2:3], off
	s_wait_loadcnt 0x0
	v_fma_f32 v1, s22, v1, v0
	global_store_b32 v[2:3], v1, off
.LBB1_18:
	s_and_not1_b32 vcc_lo, exec_lo, s3
	s_cbranch_vccnz .LBB1_20
; %bb.19:
	s_wait_xcnt 0x0
	v_mul_u64_e32 v[2:3], s[6:7], v[8:9]
	v_dual_mov_b32 v5, 0 :: v_dual_lshlrev_b32 v4, 2, v6
	s_delay_alu instid0(VALU_DEP_2) | instskip(NEXT) | instid1(VALU_DEP_1)
	v_lshl_add_u64 v[2:3], v[2:3], 2, s[4:5]
	v_add_nc_u64_e32 v[2:3], v[2:3], v[4:5]
	s_delay_alu instid0(VALU_DEP_1)
	v_lshl_add_u64 v[2:3], s[0:1], 2, v[2:3]
	global_load_b32 v1, v[2:3], off
	s_wait_loadcnt 0x0
	v_fma_f32 v1, s22, v1, v0
	global_store_b32 v[2:3], v1, off
.LBB1_20:
	s_cbranch_execz .LBB1_23
.LBB1_21:
	s_endpgm
.LBB1_22:
.LBB1_23:
	s_and_b32 vcc_lo, exec_lo, s2
	s_mov_b32 s2, -1
	s_cbranch_vccz .LBB1_25
; %bb.24:
	s_wait_xcnt 0x0
	v_mul_u64_e32 v[2:3], s[6:7], v[6:7]
	s_mov_b32 s2, 0
	s_delay_alu instid0(VALU_DEP_1) | instskip(NEXT) | instid1(VALU_DEP_1)
	v_lshl_add_u64 v[2:3], v[2:3], 2, s[4:5]
	v_lshl_add_u64 v[2:3], v[8:9], 2, v[2:3]
	s_delay_alu instid0(VALU_DEP_1)
	v_lshl_add_u64 v[2:3], s[0:1], 2, v[2:3]
	global_store_b32 v[2:3], v0, off
.LBB1_25:
	s_and_not1_b32 vcc_lo, exec_lo, s2
	s_cbranch_vccnz .LBB1_21
; %bb.26:
	s_wait_xcnt 0x0
	v_mul_u64_e32 v[2:3], s[6:7], v[8:9]
	v_dual_mov_b32 v5, 0 :: v_dual_lshlrev_b32 v4, 2, v6
	s_delay_alu instid0(VALU_DEP_2) | instskip(NEXT) | instid1(VALU_DEP_1)
	v_lshl_add_u64 v[2:3], v[2:3], 2, s[4:5]
	v_add_nc_u64_e32 v[2:3], v[2:3], v[4:5]
	s_delay_alu instid0(VALU_DEP_1)
	v_lshl_add_u64 v[2:3], s[0:1], 2, v[2:3]
	global_store_b32 v[2:3], v0, off
	s_endpgm
	.section	.rodata,"a",@progbits
	.p2align	6, 0x0
	.amdhsa_kernel _ZN9rocsparse31csrmmnn_row_split_shared_kernelILj256ELj8EflifffEEvNS_24const_host_device_scalarIT1_EES3_bbbT3_S4_llPKT2_PKS4_PKT4_PKT5_llPT6_ll16rocsparse_order_21rocsparse_index_base_
		.amdhsa_group_segment_fixed_size 2048
		.amdhsa_private_segment_fixed_size 0
		.amdhsa_kernarg_size 128
		.amdhsa_user_sgpr_count 2
		.amdhsa_user_sgpr_dispatch_ptr 0
		.amdhsa_user_sgpr_queue_ptr 0
		.amdhsa_user_sgpr_kernarg_segment_ptr 1
		.amdhsa_user_sgpr_dispatch_id 0
		.amdhsa_user_sgpr_kernarg_preload_length 0
		.amdhsa_user_sgpr_kernarg_preload_offset 0
		.amdhsa_user_sgpr_private_segment_size 0
		.amdhsa_wavefront_size32 1
		.amdhsa_uses_dynamic_stack 0
		.amdhsa_enable_private_segment 0
		.amdhsa_system_sgpr_workgroup_id_x 1
		.amdhsa_system_sgpr_workgroup_id_y 1
		.amdhsa_system_sgpr_workgroup_id_z 1
		.amdhsa_system_sgpr_workgroup_info 0
		.amdhsa_system_vgpr_workitem_id 0
		.amdhsa_next_free_vgpr 37
		.amdhsa_next_free_sgpr 28
		.amdhsa_named_barrier_count 0
		.amdhsa_reserve_vcc 1
		.amdhsa_float_round_mode_32 0
		.amdhsa_float_round_mode_16_64 0
		.amdhsa_float_denorm_mode_32 3
		.amdhsa_float_denorm_mode_16_64 3
		.amdhsa_fp16_overflow 0
		.amdhsa_memory_ordered 1
		.amdhsa_forward_progress 1
		.amdhsa_inst_pref_size 12
		.amdhsa_round_robin_scheduling 0
		.amdhsa_exception_fp_ieee_invalid_op 0
		.amdhsa_exception_fp_denorm_src 0
		.amdhsa_exception_fp_ieee_div_zero 0
		.amdhsa_exception_fp_ieee_overflow 0
		.amdhsa_exception_fp_ieee_underflow 0
		.amdhsa_exception_fp_ieee_inexact 0
		.amdhsa_exception_int_div_zero 0
	.end_amdhsa_kernel
	.section	.text._ZN9rocsparse31csrmmnn_row_split_shared_kernelILj256ELj8EflifffEEvNS_24const_host_device_scalarIT1_EES3_bbbT3_S4_llPKT2_PKS4_PKT4_PKT5_llPT6_ll16rocsparse_order_21rocsparse_index_base_,"axG",@progbits,_ZN9rocsparse31csrmmnn_row_split_shared_kernelILj256ELj8EflifffEEvNS_24const_host_device_scalarIT1_EES3_bbbT3_S4_llPKT2_PKS4_PKT4_PKT5_llPT6_ll16rocsparse_order_21rocsparse_index_base_,comdat
.Lfunc_end1:
	.size	_ZN9rocsparse31csrmmnn_row_split_shared_kernelILj256ELj8EflifffEEvNS_24const_host_device_scalarIT1_EES3_bbbT3_S4_llPKT2_PKS4_PKT4_PKT5_llPT6_ll16rocsparse_order_21rocsparse_index_base_, .Lfunc_end1-_ZN9rocsparse31csrmmnn_row_split_shared_kernelILj256ELj8EflifffEEvNS_24const_host_device_scalarIT1_EES3_bbbT3_S4_llPKT2_PKS4_PKT4_PKT5_llPT6_ll16rocsparse_order_21rocsparse_index_base_
                                        ; -- End function
	.set _ZN9rocsparse31csrmmnn_row_split_shared_kernelILj256ELj8EflifffEEvNS_24const_host_device_scalarIT1_EES3_bbbT3_S4_llPKT2_PKS4_PKT4_PKT5_llPT6_ll16rocsparse_order_21rocsparse_index_base_.num_vgpr, 37
	.set _ZN9rocsparse31csrmmnn_row_split_shared_kernelILj256ELj8EflifffEEvNS_24const_host_device_scalarIT1_EES3_bbbT3_S4_llPKT2_PKS4_PKT4_PKT5_llPT6_ll16rocsparse_order_21rocsparse_index_base_.num_agpr, 0
	.set _ZN9rocsparse31csrmmnn_row_split_shared_kernelILj256ELj8EflifffEEvNS_24const_host_device_scalarIT1_EES3_bbbT3_S4_llPKT2_PKS4_PKT4_PKT5_llPT6_ll16rocsparse_order_21rocsparse_index_base_.numbered_sgpr, 28
	.set _ZN9rocsparse31csrmmnn_row_split_shared_kernelILj256ELj8EflifffEEvNS_24const_host_device_scalarIT1_EES3_bbbT3_S4_llPKT2_PKS4_PKT4_PKT5_llPT6_ll16rocsparse_order_21rocsparse_index_base_.num_named_barrier, 0
	.set _ZN9rocsparse31csrmmnn_row_split_shared_kernelILj256ELj8EflifffEEvNS_24const_host_device_scalarIT1_EES3_bbbT3_S4_llPKT2_PKS4_PKT4_PKT5_llPT6_ll16rocsparse_order_21rocsparse_index_base_.private_seg_size, 0
	.set _ZN9rocsparse31csrmmnn_row_split_shared_kernelILj256ELj8EflifffEEvNS_24const_host_device_scalarIT1_EES3_bbbT3_S4_llPKT2_PKS4_PKT4_PKT5_llPT6_ll16rocsparse_order_21rocsparse_index_base_.uses_vcc, 1
	.set _ZN9rocsparse31csrmmnn_row_split_shared_kernelILj256ELj8EflifffEEvNS_24const_host_device_scalarIT1_EES3_bbbT3_S4_llPKT2_PKS4_PKT4_PKT5_llPT6_ll16rocsparse_order_21rocsparse_index_base_.uses_flat_scratch, 0
	.set _ZN9rocsparse31csrmmnn_row_split_shared_kernelILj256ELj8EflifffEEvNS_24const_host_device_scalarIT1_EES3_bbbT3_S4_llPKT2_PKS4_PKT4_PKT5_llPT6_ll16rocsparse_order_21rocsparse_index_base_.has_dyn_sized_stack, 0
	.set _ZN9rocsparse31csrmmnn_row_split_shared_kernelILj256ELj8EflifffEEvNS_24const_host_device_scalarIT1_EES3_bbbT3_S4_llPKT2_PKS4_PKT4_PKT5_llPT6_ll16rocsparse_order_21rocsparse_index_base_.has_recursion, 0
	.set _ZN9rocsparse31csrmmnn_row_split_shared_kernelILj256ELj8EflifffEEvNS_24const_host_device_scalarIT1_EES3_bbbT3_S4_llPKT2_PKS4_PKT4_PKT5_llPT6_ll16rocsparse_order_21rocsparse_index_base_.has_indirect_call, 0
	.section	.AMDGPU.csdata,"",@progbits
; Kernel info:
; codeLenInByte = 1488
; TotalNumSgprs: 30
; NumVgprs: 37
; ScratchSize: 0
; MemoryBound: 0
; FloatMode: 240
; IeeeMode: 1
; LDSByteSize: 2048 bytes/workgroup (compile time only)
; SGPRBlocks: 0
; VGPRBlocks: 2
; NumSGPRsForWavesPerEU: 30
; NumVGPRsForWavesPerEU: 37
; NamedBarCnt: 0
; Occupancy: 16
; WaveLimiterHint : 1
; COMPUTE_PGM_RSRC2:SCRATCH_EN: 0
; COMPUTE_PGM_RSRC2:USER_SGPR: 2
; COMPUTE_PGM_RSRC2:TRAP_HANDLER: 0
; COMPUTE_PGM_RSRC2:TGID_X_EN: 1
; COMPUTE_PGM_RSRC2:TGID_Y_EN: 1
; COMPUTE_PGM_RSRC2:TGID_Z_EN: 1
; COMPUTE_PGM_RSRC2:TIDIG_COMP_CNT: 0
	.section	.text._ZN9rocsparse31csrmmnn_row_split_shared_kernelILj256ELj8EfllfffEEvNS_24const_host_device_scalarIT1_EES3_bbbT3_S4_llPKT2_PKS4_PKT4_PKT5_llPT6_ll16rocsparse_order_21rocsparse_index_base_,"axG",@progbits,_ZN9rocsparse31csrmmnn_row_split_shared_kernelILj256ELj8EfllfffEEvNS_24const_host_device_scalarIT1_EES3_bbbT3_S4_llPKT2_PKS4_PKT4_PKT5_llPT6_ll16rocsparse_order_21rocsparse_index_base_,comdat
	.protected	_ZN9rocsparse31csrmmnn_row_split_shared_kernelILj256ELj8EfllfffEEvNS_24const_host_device_scalarIT1_EES3_bbbT3_S4_llPKT2_PKS4_PKT4_PKT5_llPT6_ll16rocsparse_order_21rocsparse_index_base_ ; -- Begin function _ZN9rocsparse31csrmmnn_row_split_shared_kernelILj256ELj8EfllfffEEvNS_24const_host_device_scalarIT1_EES3_bbbT3_S4_llPKT2_PKS4_PKT4_PKT5_llPT6_ll16rocsparse_order_21rocsparse_index_base_
	.globl	_ZN9rocsparse31csrmmnn_row_split_shared_kernelILj256ELj8EfllfffEEvNS_24const_host_device_scalarIT1_EES3_bbbT3_S4_llPKT2_PKS4_PKT4_PKT5_llPT6_ll16rocsparse_order_21rocsparse_index_base_
	.p2align	8
	.type	_ZN9rocsparse31csrmmnn_row_split_shared_kernelILj256ELj8EfllfffEEvNS_24const_host_device_scalarIT1_EES3_bbbT3_S4_llPKT2_PKS4_PKT4_PKT5_llPT6_ll16rocsparse_order_21rocsparse_index_base_,@function
_ZN9rocsparse31csrmmnn_row_split_shared_kernelILj256ELj8EfllfffEEvNS_24const_host_device_scalarIT1_EES3_bbbT3_S4_llPKT2_PKS4_PKT4_PKT5_llPT6_ll16rocsparse_order_21rocsparse_index_base_: ; @_ZN9rocsparse31csrmmnn_row_split_shared_kernelILj256ELj8EfllfffEEvNS_24const_host_device_scalarIT1_EES3_bbbT3_S4_llPKT2_PKS4_PKT4_PKT5_llPT6_ll16rocsparse_order_21rocsparse_index_base_
; %bb.0:
	s_clause 0x1
	s_load_b32 s2, s[0:1], 0x10
	s_load_b128 s[28:31], s[0:1], 0x0
	s_wait_kmcnt 0x0
	s_bitcmp1_b32 s2, 0
	s_cselect_b32 s2, -1, 0
	s_delay_alu instid0(SALU_CYCLE_1)
	s_and_b32 vcc_lo, exec_lo, s2
	s_xor_b32 s2, s2, -1
	s_cbranch_vccnz .LBB2_2
; %bb.1:
	s_load_b32 s28, s[28:29], 0x0
.LBB2_2:
	s_and_not1_b32 vcc_lo, exec_lo, s2
	s_cbranch_vccnz .LBB2_4
; %bb.3:
	s_load_b32 s30, s[30:31], 0x0
.LBB2_4:
	s_wait_kmcnt 0x0
	s_cmp_eq_f32 s28, 0
	s_cselect_b32 s2, -1, 0
	s_cmp_eq_f32 s30, 1.0
	s_cselect_b32 s3, -1, 0
	s_delay_alu instid0(SALU_CYCLE_1) | instskip(NEXT) | instid1(SALU_CYCLE_1)
	s_and_b32 s2, s2, s3
	s_and_b32 vcc_lo, exec_lo, s2
	s_cbranch_vccnz .LBB2_21
; %bb.5:
	s_bfe_u32 s2, ttmp6, 0x4000c
	s_load_b512 s[4:19], s[0:1], 0x18
	s_add_co_i32 s2, s2, 1
	s_and_b32 s3, ttmp6, 15
	s_mul_i32 s20, ttmp9, s2
	s_getreg_b32 s2, hwreg(HW_REG_IB_STS2, 6, 4)
	s_add_co_i32 s3, s3, s20
	s_cmp_eq_u32 s2, 0
	v_mov_b32_e32 v7, 0
	s_cselect_b32 s3, ttmp9, s3
	s_delay_alu instid0(SALU_CYCLE_1) | instskip(SKIP_1) | instid1(VALU_DEP_1)
	v_lshl_or_b32 v1, s3, 8, v0
	s_mov_b32 s3, exec_lo
	v_lshrrev_b32_e32 v6, 3, v1
	s_wait_kmcnt 0x0
	s_delay_alu instid0(VALU_DEP_1)
	v_cmpx_gt_i64_e64 s[4:5], v[6:7]
	s_cbranch_execz .LBB2_21
; %bb.6:
	s_bfe_u32 s3, ttmp6, 0x40014
	s_bfe_u32 s5, ttmp6, 0x40010
	s_lshr_b32 s4, ttmp7, 16
	s_add_co_i32 s3, s3, 1
	s_and_b32 s20, ttmp7, 0xffff
	s_add_co_i32 s5, s5, 1
	s_mul_i32 s3, s4, s3
	s_bfe_u32 s21, ttmp6, 0x40008
	s_mul_i32 s5, s20, s5
	s_bfe_u32 s22, ttmp6, 0x40004
	s_add_co_i32 s21, s21, s3
	s_add_co_i32 s22, s22, s5
	s_cmp_eq_u32 s2, 0
	s_mov_b32 s3, 0
	s_cselect_b32 s2, s4, s21
	v_dual_lshlrev_b32 v1, 3, v6 :: v_dual_bitop2_b32 v10, 7, v0 bitop3:0x40
	s_mul_u64 s[4:5], s[8:9], s[2:3]
	s_cselect_b32 s29, s20, s22
	s_lshl_b64 s[4:5], s[4:5], 3
	v_dual_mov_b32 v9, v7 :: v_dual_mov_b32 v18, v7
	s_add_nc_u64 s[4:5], s[12:13], s[4:5]
	v_lshl_or_b32 v8, s29, 3, v10
	global_load_b128 v[2:5], v1, s[4:5]
	s_clause 0x1
	s_load_b256 s[20:27], s[0:1], 0x58
	s_load_b128 s[36:39], s[0:1], 0x78
	s_wait_xcnt 0x0
	s_mov_b32 s1, exec_lo
	s_wait_loadcnt 0x0
	v_cmpx_lt_i64_e64 v[2:3], v[4:5]
	s_cbranch_execz .LBB2_14
; %bb.7:
	s_wait_kmcnt 0x0
	v_mul_u64_e32 v[14:15], s[20:21], v[8:9]
	v_mad_nc_u64_u32 v[12:13], s10, s2, v[2:3]
	v_dual_mov_b32 v11, 0 :: v_dual_lshrrev_b32 v0, 3, v0
	s_mov_b32 s4, s39
	s_mov_b32 s5, s3
	s_mul_u64 s[8:9], s[22:23], s[2:3]
	v_sub_nc_u64_e64 v[2:3], v[2:3], s[4:5]
	v_dual_mov_b32 v18, v11 :: v_dual_lshlrev_b32 v19, 6, v0
	v_lshl_or_b32 v20, v0, 5, 0x800
	v_sub_nc_u64_e64 v[0:1], v[4:5], s[4:5]
	v_mad_u32 v13, s11, s2, v13
	s_delay_alu instid0(VALU_DEP_4) | instskip(SKIP_2) | instid1(VALU_DEP_4)
	v_lshl_or_b32 v21, v10, 3, v19
	v_cmp_gt_i64_e32 vcc_lo, s[6:7], v[8:9]
	v_lshl_or_b32 v22, v10, 2, v20
	v_add_nc_u64_e32 v[12:13], v[12:13], v[10:11]
	s_delay_alu instid0(VALU_DEP_1) | instskip(SKIP_1) | instid1(VALU_DEP_2)
	v_sub_nc_u64_e64 v[12:13], v[12:13], s[4:5]
	v_lshl_add_u64 v[14:15], v[14:15], 2, s[18:19]
	v_lshl_add_u64 v[4:5], v[12:13], 3, s[14:15]
	;; [unrolled: 1-line block ×3, first 2 shown]
	s_delay_alu instid0(VALU_DEP_3)
	v_lshl_add_u64 v[14:15], s[8:9], 2, v[14:15]
	s_mov_b32 s8, s3
	s_branch .LBB2_9
.LBB2_8:                                ;   in Loop: Header=BB2_9 Depth=1
	s_or_b32 exec_lo, exec_lo, s0
	v_add_nc_u64_e32 v[2:3], 8, v[2:3]
	v_add_nc_u64_e32 v[4:5], 64, v[4:5]
	;; [unrolled: 1-line block ×3, first 2 shown]
	s_delay_alu instid0(VALU_DEP_3) | instskip(SKIP_1) | instid1(SALU_CYCLE_1)
	v_cmp_ge_i64_e64 s0, v[2:3], v[0:1]
	s_or_b32 s8, s0, s8
	s_and_not1_b32 exec_lo, exec_lo, s8
	s_cbranch_execz .LBB2_13
.LBB2_9:                                ; =>This Inner Loop Header: Depth=1
	v_add_nc_u64_e32 v[16:17], v[10:11], v[2:3]
	v_mov_b32_e32 v23, 0
	s_barrier_signal -1
	s_barrier_wait -1
	s_delay_alu instid0(VALU_DEP_2)
	v_cmp_lt_i64_e64 s0, v[16:17], v[0:1]
	v_mov_b64_e32 v[16:17], 0
	s_and_saveexec_b32 s9, s0
	s_cbranch_execz .LBB2_11
; %bb.10:                               ;   in Loop: Header=BB2_9 Depth=1
	global_load_b64 v[16:17], v[4:5], off
	global_load_b32 v23, v[12:13], off
	s_wait_loadcnt 0x1
	v_sub_nc_u64_e64 v[16:17], v[16:17], s[4:5]
.LBB2_11:                               ;   in Loop: Header=BB2_9 Depth=1
	s_wait_xcnt 0x0
	s_or_b32 exec_lo, exec_lo, s9
	ds_store_b64 v21, v[16:17]
	s_wait_loadcnt 0x0
	ds_store_b32 v22, v23
	s_wait_dscnt 0x0
	s_barrier_signal -1
	s_barrier_wait -1
	s_and_saveexec_b32 s0, vcc_lo
	s_cbranch_execz .LBB2_8
; %bb.12:                               ;   in Loop: Header=BB2_9 Depth=1
	ds_load_b128 v[24:27], v19
	ds_load_b128 v[28:31], v19 offset:16
	ds_load_b128 v[32:35], v19 offset:32
	s_wait_dscnt 0x2
	v_lshl_add_u64 v[16:17], v[24:25], 2, v[14:15]
	v_lshl_add_u64 v[36:37], v[26:27], 2, v[14:15]
	ds_load_b128 v[24:27], v19 offset:48
	s_clause 0x1
	global_load_b32 v23, v[16:17], off
	global_load_b32 v36, v[36:37], off
	s_wait_dscnt 0x2
	s_wait_xcnt 0x1
	v_lshl_add_u64 v[16:17], v[28:29], 2, v[14:15]
	v_lshl_add_u64 v[28:29], v[30:31], 2, v[14:15]
	s_clause 0x1
	global_load_b32 v37, v[16:17], off
	global_load_b32 v38, v[28:29], off
	s_wait_dscnt 0x1
	s_wait_xcnt 0x1
	v_lshl_add_u64 v[16:17], v[32:33], 2, v[14:15]
	s_wait_xcnt 0x0
	v_lshl_add_u64 v[28:29], v[34:35], 2, v[14:15]
	s_clause 0x1
	global_load_b32 v32, v[16:17], off
	global_load_b32 v33, v[28:29], off
	s_wait_dscnt 0x0
	s_wait_xcnt 0x1
	v_lshl_add_u64 v[16:17], v[24:25], 2, v[14:15]
	v_lshl_add_u64 v[24:25], v[26:27], 2, v[14:15]
	s_clause 0x1
	global_load_b32 v34, v[16:17], off
	global_load_b32 v35, v[24:25], off
	s_wait_xcnt 0x0
	ds_load_b128 v[24:27], v20
	ds_load_b128 v[28:31], v20 offset:16
	s_wait_loadcnt_dscnt 0x701
	v_fmac_f32_e32 v18, v24, v23
	s_wait_loadcnt 0x6
	s_delay_alu instid0(VALU_DEP_1) | instskip(SKIP_1) | instid1(VALU_DEP_1)
	v_fmac_f32_e32 v18, v25, v36
	s_wait_loadcnt 0x5
	v_fmac_f32_e32 v18, v26, v37
	s_wait_loadcnt 0x4
	s_delay_alu instid0(VALU_DEP_1) | instskip(SKIP_1) | instid1(VALU_DEP_1)
	v_fmac_f32_e32 v18, v27, v38
	s_wait_loadcnt_dscnt 0x300
	v_fmac_f32_e32 v18, v28, v32
	s_wait_loadcnt 0x2
	s_delay_alu instid0(VALU_DEP_1) | instskip(SKIP_1) | instid1(VALU_DEP_1)
	v_fmac_f32_e32 v18, v29, v33
	s_wait_loadcnt 0x1
	v_fmac_f32_e32 v18, v30, v34
	s_wait_loadcnt 0x0
	s_delay_alu instid0(VALU_DEP_1)
	v_fmac_f32_e32 v18, v31, v35
	s_branch .LBB2_8
.LBB2_13:
	s_or_b32 exec_lo, exec_lo, s8
.LBB2_14:
	s_delay_alu instid0(SALU_CYCLE_1)
	s_or_b32 exec_lo, exec_lo, s1
	v_cmp_gt_i64_e32 vcc_lo, s[6:7], v[8:9]
	s_and_b32 exec_lo, exec_lo, vcc_lo
	s_cbranch_execz .LBB2_21
; %bb.15:
	s_wait_kmcnt 0x0
	s_cmp_lg_u32 s38, 1
	v_mul_f32_e32 v0, s28, v18
	s_cselect_b32 s4, -1, 0
	s_cmp_neq_f32 s30, 0
	s_mul_u64 s[0:1], s[36:37], s[2:3]
	s_cbranch_scc0 .LBB2_22
; %bb.16:
	s_and_b32 vcc_lo, exec_lo, s4
	s_mov_b32 s2, -1
	s_cbranch_vccz .LBB2_18
; %bb.17:
	v_mul_u64_e32 v[2:3], s[26:27], v[6:7]
	s_mov_b32 s2, 0
	s_delay_alu instid0(VALU_DEP_1) | instskip(NEXT) | instid1(VALU_DEP_1)
	v_lshl_add_u64 v[2:3], v[2:3], 2, s[24:25]
	v_lshl_add_u64 v[2:3], v[8:9], 2, v[2:3]
	s_delay_alu instid0(VALU_DEP_1)
	v_lshl_add_u64 v[2:3], s[0:1], 2, v[2:3]
	global_load_b32 v1, v[2:3], off
	s_wait_loadcnt 0x0
	v_fma_f32 v1, s30, v1, v0
	global_store_b32 v[2:3], v1, off
.LBB2_18:
	s_and_not1_b32 vcc_lo, exec_lo, s2
	s_cbranch_vccnz .LBB2_20
; %bb.19:
	s_wait_xcnt 0x0
	v_mul_u64_e32 v[2:3], s[26:27], v[8:9]
	v_dual_mov_b32 v5, 0 :: v_dual_lshlrev_b32 v4, 2, v6
	s_delay_alu instid0(VALU_DEP_2) | instskip(NEXT) | instid1(VALU_DEP_1)
	v_lshl_add_u64 v[2:3], v[2:3], 2, s[24:25]
	v_add_nc_u64_e32 v[2:3], v[2:3], v[4:5]
	s_delay_alu instid0(VALU_DEP_1)
	v_lshl_add_u64 v[2:3], s[0:1], 2, v[2:3]
	global_load_b32 v1, v[2:3], off
	s_wait_loadcnt 0x0
	v_fma_f32 v1, s30, v1, v0
	global_store_b32 v[2:3], v1, off
.LBB2_20:
	s_cbranch_execz .LBB2_23
.LBB2_21:
	s_endpgm
.LBB2_22:
.LBB2_23:
	s_and_b32 vcc_lo, exec_lo, s4
	s_mov_b32 s2, -1
	s_cbranch_vccz .LBB2_25
; %bb.24:
	s_wait_xcnt 0x0
	v_mul_u64_e32 v[2:3], s[26:27], v[6:7]
	s_mov_b32 s2, 0
	s_delay_alu instid0(VALU_DEP_1) | instskip(NEXT) | instid1(VALU_DEP_1)
	v_lshl_add_u64 v[2:3], v[2:3], 2, s[24:25]
	v_lshl_add_u64 v[2:3], v[8:9], 2, v[2:3]
	s_delay_alu instid0(VALU_DEP_1)
	v_lshl_add_u64 v[2:3], s[0:1], 2, v[2:3]
	global_store_b32 v[2:3], v0, off
.LBB2_25:
	s_and_not1_b32 vcc_lo, exec_lo, s2
	s_cbranch_vccnz .LBB2_21
; %bb.26:
	s_wait_xcnt 0x0
	v_mul_u64_e32 v[2:3], s[26:27], v[8:9]
	v_dual_mov_b32 v5, 0 :: v_dual_lshlrev_b32 v4, 2, v6
	s_delay_alu instid0(VALU_DEP_2) | instskip(NEXT) | instid1(VALU_DEP_1)
	v_lshl_add_u64 v[2:3], v[2:3], 2, s[24:25]
	v_add_nc_u64_e32 v[2:3], v[2:3], v[4:5]
	s_delay_alu instid0(VALU_DEP_1)
	v_lshl_add_u64 v[2:3], s[0:1], 2, v[2:3]
	global_store_b32 v[2:3], v0, off
	s_endpgm
	.section	.rodata,"a",@progbits
	.p2align	6, 0x0
	.amdhsa_kernel _ZN9rocsparse31csrmmnn_row_split_shared_kernelILj256ELj8EfllfffEEvNS_24const_host_device_scalarIT1_EES3_bbbT3_S4_llPKT2_PKS4_PKT4_PKT5_llPT6_ll16rocsparse_order_21rocsparse_index_base_
		.amdhsa_group_segment_fixed_size 3072
		.amdhsa_private_segment_fixed_size 0
		.amdhsa_kernarg_size 136
		.amdhsa_user_sgpr_count 2
		.amdhsa_user_sgpr_dispatch_ptr 0
		.amdhsa_user_sgpr_queue_ptr 0
		.amdhsa_user_sgpr_kernarg_segment_ptr 1
		.amdhsa_user_sgpr_dispatch_id 0
		.amdhsa_user_sgpr_kernarg_preload_length 0
		.amdhsa_user_sgpr_kernarg_preload_offset 0
		.amdhsa_user_sgpr_private_segment_size 0
		.amdhsa_wavefront_size32 1
		.amdhsa_uses_dynamic_stack 0
		.amdhsa_enable_private_segment 0
		.amdhsa_system_sgpr_workgroup_id_x 1
		.amdhsa_system_sgpr_workgroup_id_y 1
		.amdhsa_system_sgpr_workgroup_id_z 1
		.amdhsa_system_sgpr_workgroup_info 0
		.amdhsa_system_vgpr_workitem_id 0
		.amdhsa_next_free_vgpr 39
		.amdhsa_next_free_sgpr 40
		.amdhsa_named_barrier_count 0
		.amdhsa_reserve_vcc 1
		.amdhsa_float_round_mode_32 0
		.amdhsa_float_round_mode_16_64 0
		.amdhsa_float_denorm_mode_32 3
		.amdhsa_float_denorm_mode_16_64 3
		.amdhsa_fp16_overflow 0
		.amdhsa_memory_ordered 1
		.amdhsa_forward_progress 1
		.amdhsa_inst_pref_size 12
		.amdhsa_round_robin_scheduling 0
		.amdhsa_exception_fp_ieee_invalid_op 0
		.amdhsa_exception_fp_denorm_src 0
		.amdhsa_exception_fp_ieee_div_zero 0
		.amdhsa_exception_fp_ieee_overflow 0
		.amdhsa_exception_fp_ieee_underflow 0
		.amdhsa_exception_fp_ieee_inexact 0
		.amdhsa_exception_int_div_zero 0
	.end_amdhsa_kernel
	.section	.text._ZN9rocsparse31csrmmnn_row_split_shared_kernelILj256ELj8EfllfffEEvNS_24const_host_device_scalarIT1_EES3_bbbT3_S4_llPKT2_PKS4_PKT4_PKT5_llPT6_ll16rocsparse_order_21rocsparse_index_base_,"axG",@progbits,_ZN9rocsparse31csrmmnn_row_split_shared_kernelILj256ELj8EfllfffEEvNS_24const_host_device_scalarIT1_EES3_bbbT3_S4_llPKT2_PKS4_PKT4_PKT5_llPT6_ll16rocsparse_order_21rocsparse_index_base_,comdat
.Lfunc_end2:
	.size	_ZN9rocsparse31csrmmnn_row_split_shared_kernelILj256ELj8EfllfffEEvNS_24const_host_device_scalarIT1_EES3_bbbT3_S4_llPKT2_PKS4_PKT4_PKT5_llPT6_ll16rocsparse_order_21rocsparse_index_base_, .Lfunc_end2-_ZN9rocsparse31csrmmnn_row_split_shared_kernelILj256ELj8EfllfffEEvNS_24const_host_device_scalarIT1_EES3_bbbT3_S4_llPKT2_PKS4_PKT4_PKT5_llPT6_ll16rocsparse_order_21rocsparse_index_base_
                                        ; -- End function
	.set _ZN9rocsparse31csrmmnn_row_split_shared_kernelILj256ELj8EfllfffEEvNS_24const_host_device_scalarIT1_EES3_bbbT3_S4_llPKT2_PKS4_PKT4_PKT5_llPT6_ll16rocsparse_order_21rocsparse_index_base_.num_vgpr, 39
	.set _ZN9rocsparse31csrmmnn_row_split_shared_kernelILj256ELj8EfllfffEEvNS_24const_host_device_scalarIT1_EES3_bbbT3_S4_llPKT2_PKS4_PKT4_PKT5_llPT6_ll16rocsparse_order_21rocsparse_index_base_.num_agpr, 0
	.set _ZN9rocsparse31csrmmnn_row_split_shared_kernelILj256ELj8EfllfffEEvNS_24const_host_device_scalarIT1_EES3_bbbT3_S4_llPKT2_PKS4_PKT4_PKT5_llPT6_ll16rocsparse_order_21rocsparse_index_base_.numbered_sgpr, 40
	.set _ZN9rocsparse31csrmmnn_row_split_shared_kernelILj256ELj8EfllfffEEvNS_24const_host_device_scalarIT1_EES3_bbbT3_S4_llPKT2_PKS4_PKT4_PKT5_llPT6_ll16rocsparse_order_21rocsparse_index_base_.num_named_barrier, 0
	.set _ZN9rocsparse31csrmmnn_row_split_shared_kernelILj256ELj8EfllfffEEvNS_24const_host_device_scalarIT1_EES3_bbbT3_S4_llPKT2_PKS4_PKT4_PKT5_llPT6_ll16rocsparse_order_21rocsparse_index_base_.private_seg_size, 0
	.set _ZN9rocsparse31csrmmnn_row_split_shared_kernelILj256ELj8EfllfffEEvNS_24const_host_device_scalarIT1_EES3_bbbT3_S4_llPKT2_PKS4_PKT4_PKT5_llPT6_ll16rocsparse_order_21rocsparse_index_base_.uses_vcc, 1
	.set _ZN9rocsparse31csrmmnn_row_split_shared_kernelILj256ELj8EfllfffEEvNS_24const_host_device_scalarIT1_EES3_bbbT3_S4_llPKT2_PKS4_PKT4_PKT5_llPT6_ll16rocsparse_order_21rocsparse_index_base_.uses_flat_scratch, 0
	.set _ZN9rocsparse31csrmmnn_row_split_shared_kernelILj256ELj8EfllfffEEvNS_24const_host_device_scalarIT1_EES3_bbbT3_S4_llPKT2_PKS4_PKT4_PKT5_llPT6_ll16rocsparse_order_21rocsparse_index_base_.has_dyn_sized_stack, 0
	.set _ZN9rocsparse31csrmmnn_row_split_shared_kernelILj256ELj8EfllfffEEvNS_24const_host_device_scalarIT1_EES3_bbbT3_S4_llPKT2_PKS4_PKT4_PKT5_llPT6_ll16rocsparse_order_21rocsparse_index_base_.has_recursion, 0
	.set _ZN9rocsparse31csrmmnn_row_split_shared_kernelILj256ELj8EfllfffEEvNS_24const_host_device_scalarIT1_EES3_bbbT3_S4_llPKT2_PKS4_PKT4_PKT5_llPT6_ll16rocsparse_order_21rocsparse_index_base_.has_indirect_call, 0
	.section	.AMDGPU.csdata,"",@progbits
; Kernel info:
; codeLenInByte = 1420
; TotalNumSgprs: 42
; NumVgprs: 39
; ScratchSize: 0
; MemoryBound: 0
; FloatMode: 240
; IeeeMode: 1
; LDSByteSize: 3072 bytes/workgroup (compile time only)
; SGPRBlocks: 0
; VGPRBlocks: 2
; NumSGPRsForWavesPerEU: 42
; NumVGPRsForWavesPerEU: 39
; NamedBarCnt: 0
; Occupancy: 16
; WaveLimiterHint : 0
; COMPUTE_PGM_RSRC2:SCRATCH_EN: 0
; COMPUTE_PGM_RSRC2:USER_SGPR: 2
; COMPUTE_PGM_RSRC2:TRAP_HANDLER: 0
; COMPUTE_PGM_RSRC2:TGID_X_EN: 1
; COMPUTE_PGM_RSRC2:TGID_Y_EN: 1
; COMPUTE_PGM_RSRC2:TGID_Z_EN: 1
; COMPUTE_PGM_RSRC2:TIDIG_COMP_CNT: 0
	.section	.text._ZN9rocsparse31csrmmnn_row_split_shared_kernelILj256ELj8EdiidddEEvNS_24const_host_device_scalarIT1_EES3_bbbT3_S4_llPKT2_PKS4_PKT4_PKT5_llPT6_ll16rocsparse_order_21rocsparse_index_base_,"axG",@progbits,_ZN9rocsparse31csrmmnn_row_split_shared_kernelILj256ELj8EdiidddEEvNS_24const_host_device_scalarIT1_EES3_bbbT3_S4_llPKT2_PKS4_PKT4_PKT5_llPT6_ll16rocsparse_order_21rocsparse_index_base_,comdat
	.protected	_ZN9rocsparse31csrmmnn_row_split_shared_kernelILj256ELj8EdiidddEEvNS_24const_host_device_scalarIT1_EES3_bbbT3_S4_llPKT2_PKS4_PKT4_PKT5_llPT6_ll16rocsparse_order_21rocsparse_index_base_ ; -- Begin function _ZN9rocsparse31csrmmnn_row_split_shared_kernelILj256ELj8EdiidddEEvNS_24const_host_device_scalarIT1_EES3_bbbT3_S4_llPKT2_PKS4_PKT4_PKT5_llPT6_ll16rocsparse_order_21rocsparse_index_base_
	.globl	_ZN9rocsparse31csrmmnn_row_split_shared_kernelILj256ELj8EdiidddEEvNS_24const_host_device_scalarIT1_EES3_bbbT3_S4_llPKT2_PKS4_PKT4_PKT5_llPT6_ll16rocsparse_order_21rocsparse_index_base_
	.p2align	8
	.type	_ZN9rocsparse31csrmmnn_row_split_shared_kernelILj256ELj8EdiidddEEvNS_24const_host_device_scalarIT1_EES3_bbbT3_S4_llPKT2_PKS4_PKT4_PKT5_llPT6_ll16rocsparse_order_21rocsparse_index_base_,@function
_ZN9rocsparse31csrmmnn_row_split_shared_kernelILj256ELj8EdiidddEEvNS_24const_host_device_scalarIT1_EES3_bbbT3_S4_llPKT2_PKS4_PKT4_PKT5_llPT6_ll16rocsparse_order_21rocsparse_index_base_: ; @_ZN9rocsparse31csrmmnn_row_split_shared_kernelILj256ELj8EdiidddEEvNS_24const_host_device_scalarIT1_EES3_bbbT3_S4_llPKT2_PKS4_PKT4_PKT5_llPT6_ll16rocsparse_order_21rocsparse_index_base_
; %bb.0:
	s_clause 0x1
	s_load_b96 s[20:22], s[0:1], 0x10
	s_load_b128 s[4:7], s[0:1], 0x0
	s_wait_kmcnt 0x0
	s_bitcmp1_b32 s20, 0
	v_mov_b64_e32 v[6:7], s[4:5]
	s_cselect_b32 s2, -1, 0
	s_delay_alu instid0(SALU_CYCLE_1)
	s_and_b32 vcc_lo, exec_lo, s2
	s_xor_b32 s2, s2, -1
	s_cbranch_vccnz .LBB3_2
; %bb.1:
	v_mov_b32_e32 v1, 0
	flat_load_b64 v[6:7], v1, s[4:5]
.LBB3_2:
	v_mov_b64_e32 v[2:3], s[6:7]
	s_and_not1_b32 vcc_lo, exec_lo, s2
	s_cbranch_vccnz .LBB3_4
; %bb.3:
	s_wait_xcnt 0x0
	v_mov_b32_e32 v1, 0
	flat_load_b64 v[2:3], v1, s[6:7]
.LBB3_4:
	s_wait_loadcnt_dscnt 0x0
	v_cmp_neq_f64_e32 vcc_lo, 0, v[6:7]
	s_delay_alu instid0(VALU_DEP_2) | instskip(SKIP_1) | instid1(SALU_CYCLE_1)
	v_cmp_neq_f64_e64 s2, 1.0, v[2:3]
	s_or_b32 s2, vcc_lo, s2
	s_and_saveexec_b32 s3, s2
	s_cbranch_execz .LBB3_25
; %bb.5:
	s_bfe_u32 s2, ttmp6, 0x4000c
	s_and_b32 s3, ttmp6, 15
	s_add_co_i32 s2, s2, 1
	s_delay_alu instid0(SALU_CYCLE_1) | instskip(SKIP_4) | instid1(SALU_CYCLE_1)
	s_mul_i32 s4, ttmp9, s2
	s_getreg_b32 s2, hwreg(HW_REG_IB_STS2, 6, 4)
	s_add_co_i32 s3, s3, s4
	s_cmp_eq_u32 s2, 0
	s_cselect_b32 s3, ttmp9, s3
	v_lshl_or_b32 v1, s3, 8, v0
	s_delay_alu instid0(VALU_DEP_1) | instskip(NEXT) | instid1(VALU_DEP_1)
	v_lshrrev_b32_e32 v4, 3, v1
	v_cmp_gt_i32_e32 vcc_lo, s21, v4
	s_mov_b32 s21, 0
	s_and_b32 exec_lo, exec_lo, vcc_lo
	s_cbranch_execz .LBB3_25
; %bb.6:
	s_load_b512 s[4:19], s[0:1], 0x20
	s_bfe_u32 s3, ttmp6, 0x40014
	s_bfe_u32 s23, ttmp6, 0x40010
	s_lshr_b32 s20, ttmp7, 16
	s_add_co_i32 s3, s3, 1
	s_and_b32 s24, ttmp7, 0xffff
	s_add_co_i32 s23, s23, 1
	s_mul_i32 s3, s20, s3
	s_bfe_u32 s25, ttmp6, 0x40008
	s_mul_i32 s23, s24, s23
	s_bfe_u32 s26, ttmp6, 0x40004
	s_add_co_i32 s25, s25, s3
	s_add_co_i32 s26, s26, s23
	s_cmp_eq_u32 s2, 0
	v_dual_lshlrev_b32 v1, 2, v4 :: v_dual_mov_b32 v5, 0
	s_cselect_b32 s20, s20, s25
	s_cselect_b32 s23, s24, s26
	v_and_b32_e32 v16, 7, v0
	v_mov_b64_e32 v[10:11], 0
	s_wait_kmcnt 0x0
	s_mul_u64 s[2:3], s[4:5], s[20:21]
	s_delay_alu instid0(SALU_CYCLE_1)
	s_lshl_b64 s[2:3], s[2:3], 2
	v_lshl_or_b32 v8, s23, 3, v16
	s_add_nc_u64 s[2:3], s[8:9], s[2:3]
	s_load_b64 s[8:9], s[0:1], 0x78
	global_load_b64 v[12:13], v1, s[2:3]
	s_wait_xcnt 0x0
	s_mov_b32 s3, exec_lo
	v_ashrrev_i32_e32 v9, 31, v8
	s_wait_loadcnt 0x0
	v_cmpx_lt_i32_e64 v12, v13
	s_cbranch_execz .LBB3_14
; %bb.7:
	s_delay_alu instid0(VALU_DEP_2)
	v_mul_u64_e32 v[10:11], s[16:17], v[8:9]
	v_lshrrev_b32_e32 v0, 3, v0
	s_mul_u64 s[4:5], s[18:19], s[20:21]
	s_wait_kmcnt 0x0
	v_subrev_nc_u32_e32 v19, s9, v13
	v_subrev_nc_u32_e32 v20, s9, v12
	v_cmp_gt_i32_e32 vcc_lo, s22, v8
	v_lshl_or_b32 v17, v0, 5, 0x800
	v_lshlrev_b32_e32 v18, 6, v0
	s_delay_alu instid0(VALU_DEP_2) | instskip(NEXT) | instid1(VALU_DEP_2)
	v_lshl_or_b32 v21, v16, 2, v17
	v_lshl_or_b32 v22, v16, 3, v18
	v_lshl_add_u64 v[0:1], v[10:11], 3, s[14:15]
	v_mov_b64_e32 v[10:11], 0
	s_delay_alu instid0(VALU_DEP_2)
	v_lshl_add_u64 v[0:1], s[4:5], 3, v[0:1]
	s_mul_u64 s[4:5], s[6:7], s[20:21]
	s_mov_b32 s6, 0
	s_branch .LBB3_9
.LBB3_8:                                ;   in Loop: Header=BB3_9 Depth=1
	s_or_b32 exec_lo, exec_lo, s2
	v_add_nc_u32_e32 v20, 8, v20
	s_delay_alu instid0(VALU_DEP_1) | instskip(SKIP_1) | instid1(SALU_CYCLE_1)
	v_cmp_ge_i32_e64 s2, v20, v19
	s_or_b32 s6, s2, s6
	s_and_not1_b32 exec_lo, exec_lo, s6
	s_cbranch_execz .LBB3_13
.LBB3_9:                                ; =>This Inner Loop Header: Depth=1
	v_mov_b64_e32 v[14:15], 0
	v_dual_mov_b32 v13, 0 :: v_dual_add_nc_u32 v12, v16, v20
	s_mov_b32 s7, exec_lo
	s_barrier_signal -1
	s_barrier_wait -1
	s_delay_alu instid0(VALU_DEP_1)
	v_cmpx_lt_i32_e64 v12, v19
	s_cbranch_execz .LBB3_11
; %bb.10:                               ;   in Loop: Header=BB3_9 Depth=1
	v_ashrrev_i32_e32 v13, 31, v12
	s_delay_alu instid0(VALU_DEP_1) | instskip(NEXT) | instid1(VALU_DEP_1)
	v_add_nc_u64_e32 v[12:13], s[4:5], v[12:13]
	v_lshl_add_u64 v[14:15], v[12:13], 2, s[10:11]
	v_lshl_add_u64 v[12:13], v[12:13], 3, s[12:13]
	global_load_b32 v23, v[14:15], off
	global_load_b64 v[14:15], v[12:13], off
	s_wait_loadcnt 0x1
	s_wait_xcnt 0x0
	v_subrev_nc_u32_e32 v13, s9, v23
.LBB3_11:                               ;   in Loop: Header=BB3_9 Depth=1
	s_or_b32 exec_lo, exec_lo, s7
	ds_store_b32 v21, v13
	s_wait_loadcnt 0x0
	ds_store_b64 v22, v[14:15]
	s_wait_dscnt 0x0
	s_barrier_signal -1
	s_barrier_wait -1
	s_and_saveexec_b32 s2, vcc_lo
	s_cbranch_execz .LBB3_8
; %bb.12:                               ;   in Loop: Header=BB3_9 Depth=1
	ds_load_b128 v[12:15], v17
	ds_load_b128 v[24:27], v17 offset:16
	s_wait_dscnt 0x1
	v_dual_mov_b32 v28, v12 :: v_dual_ashrrev_i32 v29, 31, v12
	v_dual_mov_b32 v30, v13 :: v_dual_ashrrev_i32 v31, 31, v13
	s_delay_alu instid0(VALU_DEP_2) | instskip(NEXT) | instid1(VALU_DEP_2)
	v_lshl_add_u64 v[28:29], v[28:29], 3, v[0:1]
	v_lshl_add_u64 v[12:13], v[30:31], 3, v[0:1]
	s_clause 0x1
	global_load_b64 v[28:29], v[28:29], off
	global_load_b64 v[30:31], v[12:13], off
	s_wait_xcnt 0x0
	v_dual_mov_b32 v12, v14 :: v_dual_ashrrev_i32 v13, 31, v14
	s_delay_alu instid0(VALU_DEP_1) | instskip(SKIP_3) | instid1(VALU_DEP_1)
	v_lshl_add_u64 v[12:13], v[12:13], 3, v[0:1]
	global_load_b64 v[32:33], v[12:13], off
	s_wait_xcnt 0x0
	v_dual_mov_b32 v12, v15 :: v_dual_ashrrev_i32 v13, 31, v15
	v_lshl_add_u64 v[12:13], v[12:13], 3, v[0:1]
	global_load_b64 v[34:35], v[12:13], off
	s_wait_dscnt 0x0
	s_wait_xcnt 0x0
	v_dual_mov_b32 v12, v24 :: v_dual_ashrrev_i32 v13, 31, v24
	s_delay_alu instid0(VALU_DEP_1) | instskip(SKIP_3) | instid1(VALU_DEP_1)
	v_lshl_add_u64 v[12:13], v[12:13], 3, v[0:1]
	global_load_b64 v[36:37], v[12:13], off
	s_wait_xcnt 0x0
	v_dual_mov_b32 v12, v25 :: v_dual_ashrrev_i32 v13, 31, v25
	v_lshl_add_u64 v[12:13], v[12:13], 3, v[0:1]
	global_load_b64 v[38:39], v[12:13], off
	s_wait_xcnt 0x0
	v_dual_mov_b32 v12, v26 :: v_dual_ashrrev_i32 v13, 31, v26
	s_delay_alu instid0(VALU_DEP_1) | instskip(SKIP_3) | instid1(VALU_DEP_1)
	v_lshl_add_u64 v[12:13], v[12:13], 3, v[0:1]
	global_load_b64 v[40:41], v[12:13], off
	s_wait_xcnt 0x0
	v_dual_mov_b32 v12, v27 :: v_dual_ashrrev_i32 v13, 31, v27
	v_lshl_add_u64 v[12:13], v[12:13], 3, v[0:1]
	global_load_b64 v[42:43], v[12:13], off
	s_wait_xcnt 0x0
	ds_load_b128 v[12:15], v18
	ds_load_b128 v[24:27], v18 offset:16
	s_wait_loadcnt_dscnt 0x701
	v_fmac_f64_e32 v[10:11], v[12:13], v[28:29]
	s_wait_loadcnt 0x6
	s_delay_alu instid0(VALU_DEP_1) | instskip(SKIP_1) | instid1(VALU_DEP_1)
	v_fmac_f64_e32 v[10:11], v[14:15], v[30:31]
	s_wait_loadcnt_dscnt 0x500
	v_fmac_f64_e32 v[10:11], v[24:25], v[32:33]
	s_wait_loadcnt 0x4
	s_delay_alu instid0(VALU_DEP_1)
	v_fmac_f64_e32 v[10:11], v[26:27], v[34:35]
	ds_load_b128 v[12:15], v18 offset:32
	ds_load_b128 v[24:27], v18 offset:48
	s_wait_loadcnt_dscnt 0x301
	v_fmac_f64_e32 v[10:11], v[12:13], v[36:37]
	s_wait_loadcnt 0x2
	s_delay_alu instid0(VALU_DEP_1) | instskip(SKIP_1) | instid1(VALU_DEP_1)
	v_fmac_f64_e32 v[10:11], v[14:15], v[38:39]
	s_wait_loadcnt_dscnt 0x100
	v_fmac_f64_e32 v[10:11], v[24:25], v[40:41]
	s_wait_loadcnt 0x0
	s_delay_alu instid0(VALU_DEP_1)
	v_fmac_f64_e32 v[10:11], v[26:27], v[42:43]
	s_branch .LBB3_8
.LBB3_13:
	s_or_b32 exec_lo, exec_lo, s6
.LBB3_14:
	s_delay_alu instid0(SALU_CYCLE_1)
	s_or_b32 exec_lo, exec_lo, s3
	v_cmp_gt_i32_e32 vcc_lo, s22, v8
	s_and_b32 exec_lo, exec_lo, vcc_lo
	s_cbranch_execz .LBB3_25
; %bb.15:
	v_mul_f64_e32 v[0:1], v[6:7], v[10:11]
	s_clause 0x1
	s_load_b64 s[10:11], s[0:1], 0x70
	s_load_b128 s[4:7], s[0:1], 0x60
	s_wait_kmcnt 0x0
	s_cmp_lg_u32 s8, 1
	s_mov_b32 s3, exec_lo
	s_cselect_b32 s2, -1, 0
	s_mul_u64 s[0:1], s[10:11], s[20:21]
	v_cmpx_neq_f64_e32 0, v[2:3]
	s_xor_b32 s3, exec_lo, s3
	s_cbranch_execz .LBB3_20
; %bb.16:
	s_and_b32 vcc_lo, exec_lo, s2
	s_mov_b32 s8, -1
	s_cbranch_vccz .LBB3_18
; %bb.17:
	v_mul_u64_e32 v[6:7], s[6:7], v[4:5]
	s_mov_b32 s8, 0
	s_delay_alu instid0(VALU_DEP_1) | instskip(NEXT) | instid1(VALU_DEP_1)
	v_lshl_add_u64 v[6:7], v[6:7], 3, s[4:5]
	v_lshl_add_u64 v[6:7], v[8:9], 3, v[6:7]
	s_delay_alu instid0(VALU_DEP_1)
	v_lshl_add_u64 v[6:7], s[0:1], 3, v[6:7]
	global_load_b64 v[10:11], v[6:7], off
	s_wait_loadcnt 0x0
	v_fma_f64 v[10:11], v[2:3], v[10:11], v[0:1]
	global_store_b64 v[6:7], v[10:11], off
.LBB3_18:
	s_and_not1_b32 vcc_lo, exec_lo, s8
	s_cbranch_vccnz .LBB3_20
; %bb.19:
	s_wait_xcnt 0x0
	v_mul_u64_e32 v[6:7], s[6:7], v[8:9]
	v_dual_mov_b32 v5, 0 :: v_dual_lshlrev_b32 v4, 3, v4
                                        ; implicit-def: $vgpr8_vgpr9
	s_delay_alu instid0(VALU_DEP_2) | instskip(NEXT) | instid1(VALU_DEP_1)
	v_lshl_add_u64 v[6:7], v[6:7], 3, s[4:5]
	v_add_nc_u64_e32 v[4:5], v[6:7], v[4:5]
	s_delay_alu instid0(VALU_DEP_1)
	v_lshl_add_u64 v[4:5], s[0:1], 3, v[4:5]
	global_load_b64 v[6:7], v[4:5], off
	s_wait_loadcnt 0x0
	v_fmac_f64_e32 v[0:1], v[2:3], v[6:7]
	global_store_b64 v[4:5], v[0:1], off
                                        ; implicit-def: $vgpr4_vgpr5
                                        ; implicit-def: $vgpr0_vgpr1
.LBB3_20:
	s_wait_xcnt 0x0
	s_and_not1_saveexec_b32 s3, s3
	s_cbranch_execz .LBB3_25
; %bb.21:
	s_and_b32 vcc_lo, exec_lo, s2
	s_mov_b32 s2, -1
	s_cbranch_vccz .LBB3_23
; %bb.22:
	v_mul_u64_e32 v[2:3], s[6:7], v[4:5]
	s_mov_b32 s2, 0
	s_delay_alu instid0(VALU_DEP_1) | instskip(NEXT) | instid1(VALU_DEP_1)
	v_lshl_add_u64 v[2:3], v[2:3], 3, s[4:5]
	v_lshl_add_u64 v[2:3], v[8:9], 3, v[2:3]
	s_delay_alu instid0(VALU_DEP_1)
	v_lshl_add_u64 v[2:3], s[0:1], 3, v[2:3]
	global_store_b64 v[2:3], v[0:1], off
.LBB3_23:
	s_and_not1_b32 vcc_lo, exec_lo, s2
	s_cbranch_vccnz .LBB3_25
; %bb.24:
	s_wait_xcnt 0x0
	v_mul_u64_e32 v[2:3], s[6:7], v[8:9]
	v_dual_mov_b32 v5, 0 :: v_dual_lshlrev_b32 v4, 3, v4
	s_delay_alu instid0(VALU_DEP_2) | instskip(NEXT) | instid1(VALU_DEP_1)
	v_lshl_add_u64 v[2:3], v[2:3], 3, s[4:5]
	v_add_nc_u64_e32 v[2:3], v[2:3], v[4:5]
	s_delay_alu instid0(VALU_DEP_1)
	v_lshl_add_u64 v[2:3], s[0:1], 3, v[2:3]
	global_store_b64 v[2:3], v[0:1], off
.LBB3_25:
	s_endpgm
	.section	.rodata,"a",@progbits
	.p2align	6, 0x0
	.amdhsa_kernel _ZN9rocsparse31csrmmnn_row_split_shared_kernelILj256ELj8EdiidddEEvNS_24const_host_device_scalarIT1_EES3_bbbT3_S4_llPKT2_PKS4_PKT4_PKT5_llPT6_ll16rocsparse_order_21rocsparse_index_base_
		.amdhsa_group_segment_fixed_size 3072
		.amdhsa_private_segment_fixed_size 0
		.amdhsa_kernarg_size 128
		.amdhsa_user_sgpr_count 2
		.amdhsa_user_sgpr_dispatch_ptr 0
		.amdhsa_user_sgpr_queue_ptr 0
		.amdhsa_user_sgpr_kernarg_segment_ptr 1
		.amdhsa_user_sgpr_dispatch_id 0
		.amdhsa_user_sgpr_kernarg_preload_length 0
		.amdhsa_user_sgpr_kernarg_preload_offset 0
		.amdhsa_user_sgpr_private_segment_size 0
		.amdhsa_wavefront_size32 1
		.amdhsa_uses_dynamic_stack 0
		.amdhsa_enable_private_segment 0
		.amdhsa_system_sgpr_workgroup_id_x 1
		.amdhsa_system_sgpr_workgroup_id_y 1
		.amdhsa_system_sgpr_workgroup_id_z 1
		.amdhsa_system_sgpr_workgroup_info 0
		.amdhsa_system_vgpr_workitem_id 0
		.amdhsa_next_free_vgpr 44
		.amdhsa_next_free_sgpr 27
		.amdhsa_named_barrier_count 0
		.amdhsa_reserve_vcc 1
		.amdhsa_float_round_mode_32 0
		.amdhsa_float_round_mode_16_64 0
		.amdhsa_float_denorm_mode_32 3
		.amdhsa_float_denorm_mode_16_64 3
		.amdhsa_fp16_overflow 0
		.amdhsa_memory_ordered 1
		.amdhsa_forward_progress 1
		.amdhsa_inst_pref_size 12
		.amdhsa_round_robin_scheduling 0
		.amdhsa_exception_fp_ieee_invalid_op 0
		.amdhsa_exception_fp_denorm_src 0
		.amdhsa_exception_fp_ieee_div_zero 0
		.amdhsa_exception_fp_ieee_overflow 0
		.amdhsa_exception_fp_ieee_underflow 0
		.amdhsa_exception_fp_ieee_inexact 0
		.amdhsa_exception_int_div_zero 0
	.end_amdhsa_kernel
	.section	.text._ZN9rocsparse31csrmmnn_row_split_shared_kernelILj256ELj8EdiidddEEvNS_24const_host_device_scalarIT1_EES3_bbbT3_S4_llPKT2_PKS4_PKT4_PKT5_llPT6_ll16rocsparse_order_21rocsparse_index_base_,"axG",@progbits,_ZN9rocsparse31csrmmnn_row_split_shared_kernelILj256ELj8EdiidddEEvNS_24const_host_device_scalarIT1_EES3_bbbT3_S4_llPKT2_PKS4_PKT4_PKT5_llPT6_ll16rocsparse_order_21rocsparse_index_base_,comdat
.Lfunc_end3:
	.size	_ZN9rocsparse31csrmmnn_row_split_shared_kernelILj256ELj8EdiidddEEvNS_24const_host_device_scalarIT1_EES3_bbbT3_S4_llPKT2_PKS4_PKT4_PKT5_llPT6_ll16rocsparse_order_21rocsparse_index_base_, .Lfunc_end3-_ZN9rocsparse31csrmmnn_row_split_shared_kernelILj256ELj8EdiidddEEvNS_24const_host_device_scalarIT1_EES3_bbbT3_S4_llPKT2_PKS4_PKT4_PKT5_llPT6_ll16rocsparse_order_21rocsparse_index_base_
                                        ; -- End function
	.set _ZN9rocsparse31csrmmnn_row_split_shared_kernelILj256ELj8EdiidddEEvNS_24const_host_device_scalarIT1_EES3_bbbT3_S4_llPKT2_PKS4_PKT4_PKT5_llPT6_ll16rocsparse_order_21rocsparse_index_base_.num_vgpr, 44
	.set _ZN9rocsparse31csrmmnn_row_split_shared_kernelILj256ELj8EdiidddEEvNS_24const_host_device_scalarIT1_EES3_bbbT3_S4_llPKT2_PKS4_PKT4_PKT5_llPT6_ll16rocsparse_order_21rocsparse_index_base_.num_agpr, 0
	.set _ZN9rocsparse31csrmmnn_row_split_shared_kernelILj256ELj8EdiidddEEvNS_24const_host_device_scalarIT1_EES3_bbbT3_S4_llPKT2_PKS4_PKT4_PKT5_llPT6_ll16rocsparse_order_21rocsparse_index_base_.numbered_sgpr, 27
	.set _ZN9rocsparse31csrmmnn_row_split_shared_kernelILj256ELj8EdiidddEEvNS_24const_host_device_scalarIT1_EES3_bbbT3_S4_llPKT2_PKS4_PKT4_PKT5_llPT6_ll16rocsparse_order_21rocsparse_index_base_.num_named_barrier, 0
	.set _ZN9rocsparse31csrmmnn_row_split_shared_kernelILj256ELj8EdiidddEEvNS_24const_host_device_scalarIT1_EES3_bbbT3_S4_llPKT2_PKS4_PKT4_PKT5_llPT6_ll16rocsparse_order_21rocsparse_index_base_.private_seg_size, 0
	.set _ZN9rocsparse31csrmmnn_row_split_shared_kernelILj256ELj8EdiidddEEvNS_24const_host_device_scalarIT1_EES3_bbbT3_S4_llPKT2_PKS4_PKT4_PKT5_llPT6_ll16rocsparse_order_21rocsparse_index_base_.uses_vcc, 1
	.set _ZN9rocsparse31csrmmnn_row_split_shared_kernelILj256ELj8EdiidddEEvNS_24const_host_device_scalarIT1_EES3_bbbT3_S4_llPKT2_PKS4_PKT4_PKT5_llPT6_ll16rocsparse_order_21rocsparse_index_base_.uses_flat_scratch, 0
	.set _ZN9rocsparse31csrmmnn_row_split_shared_kernelILj256ELj8EdiidddEEvNS_24const_host_device_scalarIT1_EES3_bbbT3_S4_llPKT2_PKS4_PKT4_PKT5_llPT6_ll16rocsparse_order_21rocsparse_index_base_.has_dyn_sized_stack, 0
	.set _ZN9rocsparse31csrmmnn_row_split_shared_kernelILj256ELj8EdiidddEEvNS_24const_host_device_scalarIT1_EES3_bbbT3_S4_llPKT2_PKS4_PKT4_PKT5_llPT6_ll16rocsparse_order_21rocsparse_index_base_.has_recursion, 0
	.set _ZN9rocsparse31csrmmnn_row_split_shared_kernelILj256ELj8EdiidddEEvNS_24const_host_device_scalarIT1_EES3_bbbT3_S4_llPKT2_PKS4_PKT4_PKT5_llPT6_ll16rocsparse_order_21rocsparse_index_base_.has_indirect_call, 0
	.section	.AMDGPU.csdata,"",@progbits
; Kernel info:
; codeLenInByte = 1480
; TotalNumSgprs: 29
; NumVgprs: 44
; ScratchSize: 0
; MemoryBound: 0
; FloatMode: 240
; IeeeMode: 1
; LDSByteSize: 3072 bytes/workgroup (compile time only)
; SGPRBlocks: 0
; VGPRBlocks: 2
; NumSGPRsForWavesPerEU: 29
; NumVGPRsForWavesPerEU: 44
; NamedBarCnt: 0
; Occupancy: 16
; WaveLimiterHint : 1
; COMPUTE_PGM_RSRC2:SCRATCH_EN: 0
; COMPUTE_PGM_RSRC2:USER_SGPR: 2
; COMPUTE_PGM_RSRC2:TRAP_HANDLER: 0
; COMPUTE_PGM_RSRC2:TGID_X_EN: 1
; COMPUTE_PGM_RSRC2:TGID_Y_EN: 1
; COMPUTE_PGM_RSRC2:TGID_Z_EN: 1
; COMPUTE_PGM_RSRC2:TIDIG_COMP_CNT: 0
	.section	.text._ZN9rocsparse31csrmmnn_row_split_shared_kernelILj256ELj8EdlidddEEvNS_24const_host_device_scalarIT1_EES3_bbbT3_S4_llPKT2_PKS4_PKT4_PKT5_llPT6_ll16rocsparse_order_21rocsparse_index_base_,"axG",@progbits,_ZN9rocsparse31csrmmnn_row_split_shared_kernelILj256ELj8EdlidddEEvNS_24const_host_device_scalarIT1_EES3_bbbT3_S4_llPKT2_PKS4_PKT4_PKT5_llPT6_ll16rocsparse_order_21rocsparse_index_base_,comdat
	.protected	_ZN9rocsparse31csrmmnn_row_split_shared_kernelILj256ELj8EdlidddEEvNS_24const_host_device_scalarIT1_EES3_bbbT3_S4_llPKT2_PKS4_PKT4_PKT5_llPT6_ll16rocsparse_order_21rocsparse_index_base_ ; -- Begin function _ZN9rocsparse31csrmmnn_row_split_shared_kernelILj256ELj8EdlidddEEvNS_24const_host_device_scalarIT1_EES3_bbbT3_S4_llPKT2_PKS4_PKT4_PKT5_llPT6_ll16rocsparse_order_21rocsparse_index_base_
	.globl	_ZN9rocsparse31csrmmnn_row_split_shared_kernelILj256ELj8EdlidddEEvNS_24const_host_device_scalarIT1_EES3_bbbT3_S4_llPKT2_PKS4_PKT4_PKT5_llPT6_ll16rocsparse_order_21rocsparse_index_base_
	.p2align	8
	.type	_ZN9rocsparse31csrmmnn_row_split_shared_kernelILj256ELj8EdlidddEEvNS_24const_host_device_scalarIT1_EES3_bbbT3_S4_llPKT2_PKS4_PKT4_PKT5_llPT6_ll16rocsparse_order_21rocsparse_index_base_,@function
_ZN9rocsparse31csrmmnn_row_split_shared_kernelILj256ELj8EdlidddEEvNS_24const_host_device_scalarIT1_EES3_bbbT3_S4_llPKT2_PKS4_PKT4_PKT5_llPT6_ll16rocsparse_order_21rocsparse_index_base_: ; @_ZN9rocsparse31csrmmnn_row_split_shared_kernelILj256ELj8EdlidddEEvNS_24const_host_device_scalarIT1_EES3_bbbT3_S4_llPKT2_PKS4_PKT4_PKT5_llPT6_ll16rocsparse_order_21rocsparse_index_base_
; %bb.0:
	s_clause 0x1
	s_load_b96 s[20:22], s[0:1], 0x10
	s_load_b128 s[4:7], s[0:1], 0x0
	s_wait_kmcnt 0x0
	s_bitcmp1_b32 s20, 0
	v_mov_b64_e32 v[10:11], s[4:5]
	s_cselect_b32 s2, -1, 0
	s_delay_alu instid0(SALU_CYCLE_1)
	s_and_b32 vcc_lo, exec_lo, s2
	s_xor_b32 s2, s2, -1
	s_cbranch_vccnz .LBB4_2
; %bb.1:
	v_mov_b32_e32 v1, 0
	flat_load_b64 v[10:11], v1, s[4:5]
.LBB4_2:
	v_mov_b64_e32 v[6:7], s[6:7]
	s_and_not1_b32 vcc_lo, exec_lo, s2
	s_cbranch_vccnz .LBB4_4
; %bb.3:
	s_wait_xcnt 0x0
	v_mov_b32_e32 v1, 0
	flat_load_b64 v[6:7], v1, s[6:7]
.LBB4_4:
	s_wait_loadcnt_dscnt 0x0
	v_cmp_neq_f64_e32 vcc_lo, 0, v[10:11]
	s_delay_alu instid0(VALU_DEP_2) | instskip(SKIP_1) | instid1(SALU_CYCLE_1)
	v_cmp_neq_f64_e64 s2, 1.0, v[6:7]
	s_or_b32 s2, vcc_lo, s2
	s_and_saveexec_b32 s3, s2
	s_cbranch_execz .LBB4_25
; %bb.5:
	s_bfe_u32 s2, ttmp6, 0x4000c
	s_and_b32 s3, ttmp6, 15
	s_add_co_i32 s2, s2, 1
	s_delay_alu instid0(SALU_CYCLE_1) | instskip(SKIP_4) | instid1(SALU_CYCLE_1)
	s_mul_i32 s4, ttmp9, s2
	s_getreg_b32 s2, hwreg(HW_REG_IB_STS2, 6, 4)
	s_add_co_i32 s3, s3, s4
	s_cmp_eq_u32 s2, 0
	s_cselect_b32 s3, ttmp9, s3
	v_lshl_or_b32 v1, s3, 8, v0
	s_delay_alu instid0(VALU_DEP_1) | instskip(NEXT) | instid1(VALU_DEP_1)
	v_lshrrev_b32_e32 v8, 3, v1
	v_cmp_gt_i32_e32 vcc_lo, s21, v8
	s_mov_b32 s21, 0
	s_and_b32 exec_lo, exec_lo, vcc_lo
	s_cbranch_execz .LBB4_25
; %bb.6:
	s_load_b512 s[4:19], s[0:1], 0x20
	s_bfe_u32 s20, ttmp6, 0x40014
	s_bfe_u32 s25, ttmp6, 0x40010
	s_lshr_b32 s3, ttmp7, 16
	s_and_b32 s24, ttmp7, 0xffff
	s_add_co_i32 s20, s20, 1
	s_add_co_i32 s25, s25, 1
	s_bfe_u32 s23, ttmp6, 0x40008
	s_bfe_u32 s26, ttmp6, 0x40004
	s_mul_i32 s20, s3, s20
	s_mul_i32 s25, s24, s25
	s_add_co_i32 s23, s23, s20
	s_add_co_i32 s26, s26, s25
	s_cmp_eq_u32 s2, 0
	v_dual_lshlrev_b32 v1, 3, v8 :: v_dual_mov_b32 v9, 0
	s_cselect_b32 s20, s3, s23
	v_and_b32_e32 v14, 7, v0
	v_mov_b64_e32 v[16:17], 0
	s_wait_kmcnt 0x0
	s_mul_u64 s[2:3], s[4:5], s[20:21]
	s_cselect_b32 s4, s24, s26
	s_lshl_b64 s[2:3], s[2:3], 3
	v_lshl_or_b32 v12, s4, 3, v14
	s_add_nc_u64 s[2:3], s[8:9], s[2:3]
	s_load_b64 s[8:9], s[0:1], 0x78
	global_load_b128 v[2:5], v1, s[2:3]
	s_mov_b32 s4, exec_lo
	v_ashrrev_i32_e32 v13, 31, v12
	s_wait_loadcnt 0x0
	v_cmpx_lt_i64_e64 v[2:3], v[4:5]
	s_cbranch_execz .LBB4_14
; %bb.7:
	s_delay_alu instid0(VALU_DEP_2)
	v_mul_u64_e32 v[18:19], s[16:17], v[12:13]
	v_mad_nc_u64_u32 v[16:17], s6, s20, v[2:3]
	v_dual_mov_b32 v15, v9 :: v_dual_lshrrev_b32 v0, 3, v0
	s_mov_b32 s3, 0
	s_wait_kmcnt 0x0
	s_mov_b32 s2, s9
	v_cmp_gt_i32_e32 vcc_lo, s22, v12
	v_sub_nc_u64_e64 v[2:3], v[2:3], s[2:3]
	v_lshl_or_b32 v24, v0, 5, 0x800
	v_lshlrev_b32_e32 v25, 6, v0
	v_sub_nc_u64_e64 v[0:1], v[4:5], s[2:3]
	v_mad_u32 v17, s7, s20, v17
	s_mul_u64 s[6:7], s[18:19], s[20:21]
	v_lshl_or_b32 v26, v14, 2, v24
	v_lshl_or_b32 v27, v14, 3, v25
	s_delay_alu instid0(VALU_DEP_3) | instskip(SKIP_1) | instid1(VALU_DEP_2)
	v_add_nc_u64_e32 v[20:21], v[16:17], v[14:15]
	v_mov_b64_e32 v[16:17], 0
	v_sub_nc_u64_e64 v[20:21], v[20:21], s[2:3]
	v_lshl_add_u64 v[18:19], v[18:19], 3, s[14:15]
	s_delay_alu instid0(VALU_DEP_2) | instskip(NEXT) | instid1(VALU_DEP_2)
	v_lshl_add_u64 v[4:5], v[20:21], 2, s[10:11]
	v_lshl_add_u64 v[18:19], s[6:7], 3, v[18:19]
	;; [unrolled: 1-line block ×3, first 2 shown]
	s_branch .LBB4_9
.LBB4_8:                                ;   in Loop: Header=BB4_9 Depth=1
	s_or_b32 exec_lo, exec_lo, s2
	v_add_nc_u64_e32 v[2:3], 8, v[2:3]
	v_add_nc_u64_e32 v[4:5], 32, v[4:5]
	;; [unrolled: 1-line block ×3, first 2 shown]
	s_delay_alu instid0(VALU_DEP_3) | instskip(SKIP_1) | instid1(SALU_CYCLE_1)
	v_cmp_ge_i64_e64 s2, v[2:3], v[0:1]
	s_or_b32 s3, s2, s3
	s_and_not1_b32 exec_lo, exec_lo, s3
	s_cbranch_execz .LBB4_13
.LBB4_9:                                ; =>This Inner Loop Header: Depth=1
	v_add_nc_u64_e32 v[22:23], v[14:15], v[2:3]
	v_mov_b32_e32 v28, 0
	s_barrier_signal -1
	s_barrier_wait -1
	s_delay_alu instid0(VALU_DEP_2)
	v_cmp_lt_i64_e64 s2, v[22:23], v[0:1]
	v_mov_b64_e32 v[22:23], 0
	s_and_saveexec_b32 s5, s2
	s_cbranch_execz .LBB4_11
; %bb.10:                               ;   in Loop: Header=BB4_9 Depth=1
	global_load_b32 v28, v[4:5], off
	global_load_b64 v[22:23], v[20:21], off
	s_wait_loadcnt 0x1
	v_subrev_nc_u32_e32 v28, s9, v28
.LBB4_11:                               ;   in Loop: Header=BB4_9 Depth=1
	s_wait_xcnt 0x0
	s_or_b32 exec_lo, exec_lo, s5
	ds_store_b32 v26, v28
	s_wait_loadcnt 0x0
	ds_store_b64 v27, v[22:23]
	s_wait_dscnt 0x0
	s_barrier_signal -1
	s_barrier_wait -1
	s_and_saveexec_b32 s2, vcc_lo
	s_cbranch_execz .LBB4_8
; %bb.12:                               ;   in Loop: Header=BB4_9 Depth=1
	ds_load_b128 v[28:31], v24
	ds_load_b128 v[32:35], v24 offset:16
	s_wait_dscnt 0x1
	v_dual_mov_b32 v22, v28 :: v_dual_ashrrev_i32 v23, 31, v28
	v_dual_mov_b32 v36, v29 :: v_dual_ashrrev_i32 v37, 31, v29
	s_delay_alu instid0(VALU_DEP_2) | instskip(NEXT) | instid1(VALU_DEP_2)
	v_lshl_add_u64 v[22:23], v[22:23], 3, v[18:19]
	v_lshl_add_u64 v[28:29], v[36:37], 3, v[18:19]
	s_clause 0x1
	global_load_b64 v[22:23], v[22:23], off
	global_load_b64 v[36:37], v[28:29], off
	s_wait_xcnt 0x0
	v_dual_mov_b32 v28, v30 :: v_dual_ashrrev_i32 v29, 31, v30
	s_delay_alu instid0(VALU_DEP_1) | instskip(SKIP_3) | instid1(VALU_DEP_1)
	v_lshl_add_u64 v[28:29], v[28:29], 3, v[18:19]
	global_load_b64 v[38:39], v[28:29], off
	s_wait_xcnt 0x0
	v_dual_mov_b32 v28, v31 :: v_dual_ashrrev_i32 v29, 31, v31
	v_lshl_add_u64 v[28:29], v[28:29], 3, v[18:19]
	global_load_b64 v[40:41], v[28:29], off
	s_wait_dscnt 0x0
	s_wait_xcnt 0x0
	v_dual_mov_b32 v28, v32 :: v_dual_ashrrev_i32 v29, 31, v32
	s_delay_alu instid0(VALU_DEP_1) | instskip(SKIP_3) | instid1(VALU_DEP_1)
	v_lshl_add_u64 v[28:29], v[28:29], 3, v[18:19]
	global_load_b64 v[42:43], v[28:29], off
	s_wait_xcnt 0x0
	v_dual_mov_b32 v28, v33 :: v_dual_ashrrev_i32 v29, 31, v33
	v_lshl_add_u64 v[28:29], v[28:29], 3, v[18:19]
	global_load_b64 v[44:45], v[28:29], off
	s_wait_xcnt 0x0
	v_dual_mov_b32 v28, v34 :: v_dual_ashrrev_i32 v29, 31, v34
	s_delay_alu instid0(VALU_DEP_1) | instskip(SKIP_3) | instid1(VALU_DEP_1)
	v_lshl_add_u64 v[28:29], v[28:29], 3, v[18:19]
	global_load_b64 v[46:47], v[28:29], off
	s_wait_xcnt 0x0
	v_dual_mov_b32 v28, v35 :: v_dual_ashrrev_i32 v29, 31, v35
	v_lshl_add_u64 v[28:29], v[28:29], 3, v[18:19]
	global_load_b64 v[48:49], v[28:29], off
	s_wait_xcnt 0x0
	ds_load_b128 v[28:31], v25
	ds_load_b128 v[32:35], v25 offset:16
	s_wait_loadcnt_dscnt 0x701
	v_fmac_f64_e32 v[16:17], v[28:29], v[22:23]
	s_wait_loadcnt 0x6
	s_delay_alu instid0(VALU_DEP_1) | instskip(SKIP_1) | instid1(VALU_DEP_1)
	v_fmac_f64_e32 v[16:17], v[30:31], v[36:37]
	s_wait_loadcnt_dscnt 0x500
	v_fmac_f64_e32 v[16:17], v[32:33], v[38:39]
	s_wait_loadcnt 0x4
	s_delay_alu instid0(VALU_DEP_1)
	v_fmac_f64_e32 v[16:17], v[34:35], v[40:41]
	ds_load_b128 v[28:31], v25 offset:32
	ds_load_b128 v[32:35], v25 offset:48
	s_wait_loadcnt_dscnt 0x301
	v_fmac_f64_e32 v[16:17], v[28:29], v[42:43]
	s_wait_loadcnt 0x2
	s_delay_alu instid0(VALU_DEP_1) | instskip(SKIP_1) | instid1(VALU_DEP_1)
	v_fmac_f64_e32 v[16:17], v[30:31], v[44:45]
	s_wait_loadcnt_dscnt 0x100
	v_fmac_f64_e32 v[16:17], v[32:33], v[46:47]
	s_wait_loadcnt 0x0
	s_delay_alu instid0(VALU_DEP_1)
	v_fmac_f64_e32 v[16:17], v[34:35], v[48:49]
	s_branch .LBB4_8
.LBB4_13:
	s_or_b32 exec_lo, exec_lo, s3
.LBB4_14:
	s_delay_alu instid0(SALU_CYCLE_1)
	s_or_b32 exec_lo, exec_lo, s4
	v_cmp_gt_i32_e32 vcc_lo, s22, v12
	s_and_b32 exec_lo, exec_lo, vcc_lo
	s_cbranch_execz .LBB4_25
; %bb.15:
	v_mul_f64_e32 v[0:1], v[10:11], v[16:17]
	s_clause 0x1
	s_load_b64 s[10:11], s[0:1], 0x70
	s_load_b128 s[4:7], s[0:1], 0x60
	s_wait_kmcnt 0x0
	s_cmp_lg_u32 s8, 1
	s_mov_b32 s3, exec_lo
	s_cselect_b32 s2, -1, 0
	s_mul_u64 s[0:1], s[10:11], s[20:21]
	v_cmpx_neq_f64_e32 0, v[6:7]
	s_xor_b32 s3, exec_lo, s3
	s_cbranch_execz .LBB4_20
; %bb.16:
	s_and_b32 vcc_lo, exec_lo, s2
	s_mov_b32 s8, -1
	s_cbranch_vccz .LBB4_18
; %bb.17:
	v_mul_u64_e32 v[2:3], s[6:7], v[8:9]
	s_mov_b32 s8, 0
	s_delay_alu instid0(VALU_DEP_1) | instskip(NEXT) | instid1(VALU_DEP_1)
	v_lshl_add_u64 v[2:3], v[2:3], 3, s[4:5]
	v_lshl_add_u64 v[2:3], v[12:13], 3, v[2:3]
	s_delay_alu instid0(VALU_DEP_1)
	v_lshl_add_u64 v[2:3], s[0:1], 3, v[2:3]
	global_load_b64 v[4:5], v[2:3], off
	s_wait_loadcnt 0x0
	v_fma_f64 v[4:5], v[6:7], v[4:5], v[0:1]
	global_store_b64 v[2:3], v[4:5], off
.LBB4_18:
	s_and_not1_b32 vcc_lo, exec_lo, s8
	s_cbranch_vccnz .LBB4_20
; %bb.19:
	s_wait_xcnt 0x0
	v_mul_u64_e32 v[2:3], s[6:7], v[12:13]
	v_dual_mov_b32 v5, 0 :: v_dual_lshlrev_b32 v4, 3, v8
                                        ; implicit-def: $vgpr12_vgpr13
                                        ; implicit-def: $vgpr8_vgpr9
	s_delay_alu instid0(VALU_DEP_2) | instskip(NEXT) | instid1(VALU_DEP_1)
	v_lshl_add_u64 v[2:3], v[2:3], 3, s[4:5]
	v_add_nc_u64_e32 v[2:3], v[2:3], v[4:5]
	s_delay_alu instid0(VALU_DEP_1)
	v_lshl_add_u64 v[2:3], s[0:1], 3, v[2:3]
	global_load_b64 v[4:5], v[2:3], off
	s_wait_loadcnt 0x0
	v_fmac_f64_e32 v[0:1], v[6:7], v[4:5]
	global_store_b64 v[2:3], v[0:1], off
                                        ; implicit-def: $vgpr0_vgpr1
.LBB4_20:
	s_wait_xcnt 0x0
	s_and_not1_saveexec_b32 s3, s3
	s_cbranch_execz .LBB4_25
; %bb.21:
	s_and_b32 vcc_lo, exec_lo, s2
	s_mov_b32 s2, -1
	s_cbranch_vccz .LBB4_23
; %bb.22:
	v_mul_u64_e32 v[2:3], s[6:7], v[8:9]
	s_mov_b32 s2, 0
	s_delay_alu instid0(VALU_DEP_1) | instskip(NEXT) | instid1(VALU_DEP_1)
	v_lshl_add_u64 v[2:3], v[2:3], 3, s[4:5]
	v_lshl_add_u64 v[2:3], v[12:13], 3, v[2:3]
	s_delay_alu instid0(VALU_DEP_1)
	v_lshl_add_u64 v[2:3], s[0:1], 3, v[2:3]
	global_store_b64 v[2:3], v[0:1], off
.LBB4_23:
	s_and_not1_b32 vcc_lo, exec_lo, s2
	s_cbranch_vccnz .LBB4_25
; %bb.24:
	s_wait_xcnt 0x0
	v_mul_u64_e32 v[2:3], s[6:7], v[12:13]
	v_dual_mov_b32 v5, 0 :: v_dual_lshlrev_b32 v4, 3, v8
	s_delay_alu instid0(VALU_DEP_2) | instskip(NEXT) | instid1(VALU_DEP_1)
	v_lshl_add_u64 v[2:3], v[2:3], 3, s[4:5]
	v_add_nc_u64_e32 v[2:3], v[2:3], v[4:5]
	s_delay_alu instid0(VALU_DEP_1)
	v_lshl_add_u64 v[2:3], s[0:1], 3, v[2:3]
	global_store_b64 v[2:3], v[0:1], off
.LBB4_25:
	s_endpgm
	.section	.rodata,"a",@progbits
	.p2align	6, 0x0
	.amdhsa_kernel _ZN9rocsparse31csrmmnn_row_split_shared_kernelILj256ELj8EdlidddEEvNS_24const_host_device_scalarIT1_EES3_bbbT3_S4_llPKT2_PKS4_PKT4_PKT5_llPT6_ll16rocsparse_order_21rocsparse_index_base_
		.amdhsa_group_segment_fixed_size 3072
		.amdhsa_private_segment_fixed_size 0
		.amdhsa_kernarg_size 128
		.amdhsa_user_sgpr_count 2
		.amdhsa_user_sgpr_dispatch_ptr 0
		.amdhsa_user_sgpr_queue_ptr 0
		.amdhsa_user_sgpr_kernarg_segment_ptr 1
		.amdhsa_user_sgpr_dispatch_id 0
		.amdhsa_user_sgpr_kernarg_preload_length 0
		.amdhsa_user_sgpr_kernarg_preload_offset 0
		.amdhsa_user_sgpr_private_segment_size 0
		.amdhsa_wavefront_size32 1
		.amdhsa_uses_dynamic_stack 0
		.amdhsa_enable_private_segment 0
		.amdhsa_system_sgpr_workgroup_id_x 1
		.amdhsa_system_sgpr_workgroup_id_y 1
		.amdhsa_system_sgpr_workgroup_id_z 1
		.amdhsa_system_sgpr_workgroup_info 0
		.amdhsa_system_vgpr_workitem_id 0
		.amdhsa_next_free_vgpr 50
		.amdhsa_next_free_sgpr 27
		.amdhsa_named_barrier_count 0
		.amdhsa_reserve_vcc 1
		.amdhsa_float_round_mode_32 0
		.amdhsa_float_round_mode_16_64 0
		.amdhsa_float_denorm_mode_32 3
		.amdhsa_float_denorm_mode_16_64 3
		.amdhsa_fp16_overflow 0
		.amdhsa_memory_ordered 1
		.amdhsa_forward_progress 1
		.amdhsa_inst_pref_size 12
		.amdhsa_round_robin_scheduling 0
		.amdhsa_exception_fp_ieee_invalid_op 0
		.amdhsa_exception_fp_denorm_src 0
		.amdhsa_exception_fp_ieee_div_zero 0
		.amdhsa_exception_fp_ieee_overflow 0
		.amdhsa_exception_fp_ieee_underflow 0
		.amdhsa_exception_fp_ieee_inexact 0
		.amdhsa_exception_int_div_zero 0
	.end_amdhsa_kernel
	.section	.text._ZN9rocsparse31csrmmnn_row_split_shared_kernelILj256ELj8EdlidddEEvNS_24const_host_device_scalarIT1_EES3_bbbT3_S4_llPKT2_PKS4_PKT4_PKT5_llPT6_ll16rocsparse_order_21rocsparse_index_base_,"axG",@progbits,_ZN9rocsparse31csrmmnn_row_split_shared_kernelILj256ELj8EdlidddEEvNS_24const_host_device_scalarIT1_EES3_bbbT3_S4_llPKT2_PKS4_PKT4_PKT5_llPT6_ll16rocsparse_order_21rocsparse_index_base_,comdat
.Lfunc_end4:
	.size	_ZN9rocsparse31csrmmnn_row_split_shared_kernelILj256ELj8EdlidddEEvNS_24const_host_device_scalarIT1_EES3_bbbT3_S4_llPKT2_PKS4_PKT4_PKT5_llPT6_ll16rocsparse_order_21rocsparse_index_base_, .Lfunc_end4-_ZN9rocsparse31csrmmnn_row_split_shared_kernelILj256ELj8EdlidddEEvNS_24const_host_device_scalarIT1_EES3_bbbT3_S4_llPKT2_PKS4_PKT4_PKT5_llPT6_ll16rocsparse_order_21rocsparse_index_base_
                                        ; -- End function
	.set _ZN9rocsparse31csrmmnn_row_split_shared_kernelILj256ELj8EdlidddEEvNS_24const_host_device_scalarIT1_EES3_bbbT3_S4_llPKT2_PKS4_PKT4_PKT5_llPT6_ll16rocsparse_order_21rocsparse_index_base_.num_vgpr, 50
	.set _ZN9rocsparse31csrmmnn_row_split_shared_kernelILj256ELj8EdlidddEEvNS_24const_host_device_scalarIT1_EES3_bbbT3_S4_llPKT2_PKS4_PKT4_PKT5_llPT6_ll16rocsparse_order_21rocsparse_index_base_.num_agpr, 0
	.set _ZN9rocsparse31csrmmnn_row_split_shared_kernelILj256ELj8EdlidddEEvNS_24const_host_device_scalarIT1_EES3_bbbT3_S4_llPKT2_PKS4_PKT4_PKT5_llPT6_ll16rocsparse_order_21rocsparse_index_base_.numbered_sgpr, 27
	.set _ZN9rocsparse31csrmmnn_row_split_shared_kernelILj256ELj8EdlidddEEvNS_24const_host_device_scalarIT1_EES3_bbbT3_S4_llPKT2_PKS4_PKT4_PKT5_llPT6_ll16rocsparse_order_21rocsparse_index_base_.num_named_barrier, 0
	.set _ZN9rocsparse31csrmmnn_row_split_shared_kernelILj256ELj8EdlidddEEvNS_24const_host_device_scalarIT1_EES3_bbbT3_S4_llPKT2_PKS4_PKT4_PKT5_llPT6_ll16rocsparse_order_21rocsparse_index_base_.private_seg_size, 0
	.set _ZN9rocsparse31csrmmnn_row_split_shared_kernelILj256ELj8EdlidddEEvNS_24const_host_device_scalarIT1_EES3_bbbT3_S4_llPKT2_PKS4_PKT4_PKT5_llPT6_ll16rocsparse_order_21rocsparse_index_base_.uses_vcc, 1
	.set _ZN9rocsparse31csrmmnn_row_split_shared_kernelILj256ELj8EdlidddEEvNS_24const_host_device_scalarIT1_EES3_bbbT3_S4_llPKT2_PKS4_PKT4_PKT5_llPT6_ll16rocsparse_order_21rocsparse_index_base_.uses_flat_scratch, 0
	.set _ZN9rocsparse31csrmmnn_row_split_shared_kernelILj256ELj8EdlidddEEvNS_24const_host_device_scalarIT1_EES3_bbbT3_S4_llPKT2_PKS4_PKT4_PKT5_llPT6_ll16rocsparse_order_21rocsparse_index_base_.has_dyn_sized_stack, 0
	.set _ZN9rocsparse31csrmmnn_row_split_shared_kernelILj256ELj8EdlidddEEvNS_24const_host_device_scalarIT1_EES3_bbbT3_S4_llPKT2_PKS4_PKT4_PKT5_llPT6_ll16rocsparse_order_21rocsparse_index_base_.has_recursion, 0
	.set _ZN9rocsparse31csrmmnn_row_split_shared_kernelILj256ELj8EdlidddEEvNS_24const_host_device_scalarIT1_EES3_bbbT3_S4_llPKT2_PKS4_PKT4_PKT5_llPT6_ll16rocsparse_order_21rocsparse_index_base_.has_indirect_call, 0
	.section	.AMDGPU.csdata,"",@progbits
; Kernel info:
; codeLenInByte = 1508
; TotalNumSgprs: 29
; NumVgprs: 50
; ScratchSize: 0
; MemoryBound: 0
; FloatMode: 240
; IeeeMode: 1
; LDSByteSize: 3072 bytes/workgroup (compile time only)
; SGPRBlocks: 0
; VGPRBlocks: 3
; NumSGPRsForWavesPerEU: 29
; NumVGPRsForWavesPerEU: 50
; NamedBarCnt: 0
; Occupancy: 16
; WaveLimiterHint : 1
; COMPUTE_PGM_RSRC2:SCRATCH_EN: 0
; COMPUTE_PGM_RSRC2:USER_SGPR: 2
; COMPUTE_PGM_RSRC2:TRAP_HANDLER: 0
; COMPUTE_PGM_RSRC2:TGID_X_EN: 1
; COMPUTE_PGM_RSRC2:TGID_Y_EN: 1
; COMPUTE_PGM_RSRC2:TGID_Z_EN: 1
; COMPUTE_PGM_RSRC2:TIDIG_COMP_CNT: 0
	.section	.text._ZN9rocsparse31csrmmnn_row_split_shared_kernelILj256ELj8EdlldddEEvNS_24const_host_device_scalarIT1_EES3_bbbT3_S4_llPKT2_PKS4_PKT4_PKT5_llPT6_ll16rocsparse_order_21rocsparse_index_base_,"axG",@progbits,_ZN9rocsparse31csrmmnn_row_split_shared_kernelILj256ELj8EdlldddEEvNS_24const_host_device_scalarIT1_EES3_bbbT3_S4_llPKT2_PKS4_PKT4_PKT5_llPT6_ll16rocsparse_order_21rocsparse_index_base_,comdat
	.protected	_ZN9rocsparse31csrmmnn_row_split_shared_kernelILj256ELj8EdlldddEEvNS_24const_host_device_scalarIT1_EES3_bbbT3_S4_llPKT2_PKS4_PKT4_PKT5_llPT6_ll16rocsparse_order_21rocsparse_index_base_ ; -- Begin function _ZN9rocsparse31csrmmnn_row_split_shared_kernelILj256ELj8EdlldddEEvNS_24const_host_device_scalarIT1_EES3_bbbT3_S4_llPKT2_PKS4_PKT4_PKT5_llPT6_ll16rocsparse_order_21rocsparse_index_base_
	.globl	_ZN9rocsparse31csrmmnn_row_split_shared_kernelILj256ELj8EdlldddEEvNS_24const_host_device_scalarIT1_EES3_bbbT3_S4_llPKT2_PKS4_PKT4_PKT5_llPT6_ll16rocsparse_order_21rocsparse_index_base_
	.p2align	8
	.type	_ZN9rocsparse31csrmmnn_row_split_shared_kernelILj256ELj8EdlldddEEvNS_24const_host_device_scalarIT1_EES3_bbbT3_S4_llPKT2_PKS4_PKT4_PKT5_llPT6_ll16rocsparse_order_21rocsparse_index_base_,@function
_ZN9rocsparse31csrmmnn_row_split_shared_kernelILj256ELj8EdlldddEEvNS_24const_host_device_scalarIT1_EES3_bbbT3_S4_llPKT2_PKS4_PKT4_PKT5_llPT6_ll16rocsparse_order_21rocsparse_index_base_: ; @_ZN9rocsparse31csrmmnn_row_split_shared_kernelILj256ELj8EdlldddEEvNS_24const_host_device_scalarIT1_EES3_bbbT3_S4_llPKT2_PKS4_PKT4_PKT5_llPT6_ll16rocsparse_order_21rocsparse_index_base_
; %bb.0:
	s_clause 0x1
	s_load_b32 s2, s[0:1], 0x10
	s_load_b128 s[4:7], s[0:1], 0x0
	s_wait_kmcnt 0x0
	s_bitcmp1_b32 s2, 0
	v_mov_b64_e32 v[8:9], s[4:5]
	s_cselect_b32 s2, -1, 0
	s_delay_alu instid0(SALU_CYCLE_1)
	s_and_b32 vcc_lo, exec_lo, s2
	s_xor_b32 s2, s2, -1
	s_cbranch_vccnz .LBB5_2
; %bb.1:
	v_mov_b32_e32 v1, 0
	flat_load_b64 v[8:9], v1, s[4:5]
.LBB5_2:
	v_mov_b64_e32 v[6:7], s[6:7]
	s_and_not1_b32 vcc_lo, exec_lo, s2
	s_cbranch_vccnz .LBB5_4
; %bb.3:
	s_wait_xcnt 0x0
	v_mov_b32_e32 v1, 0
	flat_load_b64 v[6:7], v1, s[6:7]
.LBB5_4:
	s_wait_loadcnt_dscnt 0x0
	v_cmp_neq_f64_e32 vcc_lo, 0, v[8:9]
	s_delay_alu instid0(VALU_DEP_2) | instskip(SKIP_1) | instid1(SALU_CYCLE_1)
	v_cmp_neq_f64_e64 s2, 1.0, v[6:7]
	s_or_b32 s2, vcc_lo, s2
	s_and_saveexec_b32 s3, s2
	s_cbranch_execz .LBB5_25
; %bb.5:
	s_bfe_u32 s2, ttmp6, 0x4000c
	s_load_b512 s[4:19], s[0:1], 0x18
	s_add_co_i32 s2, s2, 1
	s_and_b32 s3, ttmp6, 15
	s_mul_i32 s20, ttmp9, s2
	s_getreg_b32 s2, hwreg(HW_REG_IB_STS2, 6, 4)
	s_add_co_i32 s3, s3, s20
	s_cmp_eq_u32 s2, 0
	v_mov_b32_e32 v11, 0
	s_cselect_b32 s3, ttmp9, s3
	s_delay_alu instid0(SALU_CYCLE_1) | instskip(SKIP_1) | instid1(VALU_DEP_1)
	v_lshl_or_b32 v1, s3, 8, v0
	s_mov_b32 s3, 0
	v_lshrrev_b32_e32 v10, 3, v1
	s_wait_kmcnt 0x0
	s_delay_alu instid0(VALU_DEP_1)
	v_cmp_gt_i64_e32 vcc_lo, s[4:5], v[10:11]
	s_and_b32 exec_lo, exec_lo, vcc_lo
	s_cbranch_execz .LBB5_25
; %bb.6:
	s_bfe_u32 s4, ttmp6, 0x40014
	s_bfe_u32 s20, ttmp6, 0x40010
	s_lshr_b32 s5, ttmp7, 16
	s_add_co_i32 s4, s4, 1
	s_and_b32 s21, ttmp7, 0xffff
	s_add_co_i32 s20, s20, 1
	s_mul_i32 s4, s5, s4
	s_bfe_u32 s22, ttmp6, 0x40008
	s_mul_i32 s20, s21, s20
	s_bfe_u32 s23, ttmp6, 0x40004
	s_add_co_i32 s22, s22, s4
	s_add_co_i32 s23, s23, s20
	s_cmp_eq_u32 s2, 0
	v_dual_lshlrev_b32 v12, 3, v10 :: v_dual_bitop2_b32 v16, 7, v0 bitop3:0x40
	s_cselect_b32 s2, s5, s22
	s_cselect_b32 s33, s21, s23
	s_mul_u64 s[4:5], s[8:9], s[2:3]
	v_mov_b64_e32 v[18:19], 0
	s_lshl_b64 s[4:5], s[4:5], 3
	v_lshl_or_b32 v14, s33, 3, v16
	s_add_nc_u64 s[4:5], s[12:13], s[4:5]
	v_mov_b32_e32 v15, v11
	global_load_b128 v[2:5], v12, s[4:5]
	s_clause 0x1
	s_load_b256 s[20:27], s[0:1], 0x58
	s_load_b128 s[28:31], s[0:1], 0x78
	s_wait_xcnt 0x0
	s_mov_b32 s1, exec_lo
	s_wait_loadcnt 0x0
	v_cmpx_lt_i64_e64 v[2:3], v[4:5]
	s_cbranch_execz .LBB5_14
; %bb.7:
	v_mad_nc_u64_u32 v[18:19], s10, s2, v[2:3]
	s_wait_kmcnt 0x0
	v_mul_u64_e32 v[20:21], s[20:21], v[14:15]
	v_dual_mov_b32 v17, 0 :: v_dual_lshlrev_b32 v0, 3, v0
	s_mov_b32 s5, 0
	s_mov_b32 s4, s31
	v_lshlrev_b32_e32 v24, 3, v16
	s_mul_u64 s[8:9], s[22:23], s[2:3]
	v_and_b32_e32 v13, 0x7c0, v0
	v_sub_nc_u64_e64 v[0:1], v[4:5], s[4:5]
	v_sub_nc_u64_e64 v[2:3], v[2:3], s[4:5]
	v_mad_u32 v19, s11, s2, v19
	v_cmp_gt_i64_e32 vcc_lo, s[6:7], v[14:15]
	v_or_b32_e32 v29, 0x800, v13
	v_or_b32_e32 v28, v13, v24
	s_delay_alu instid0(VALU_DEP_2) | instskip(SKIP_1) | instid1(VALU_DEP_1)
	v_or_b32_e32 v30, v29, v24
	v_add_nc_u64_e32 v[18:19], v[18:19], v[16:17]
	v_sub_nc_u64_e64 v[18:19], v[18:19], s[4:5]
	v_lshl_add_u64 v[22:23], v[20:21], 3, s[18:19]
	s_delay_alu instid0(VALU_DEP_2) | instskip(NEXT) | instid1(VALU_DEP_2)
	v_lshlrev_b64_e32 v[18:19], 3, v[18:19]
	v_lshl_add_u64 v[22:23], s[8:9], 3, v[22:23]
	s_mov_b32 s8, s5
	s_delay_alu instid0(VALU_DEP_2)
	v_add_nc_u64_e32 v[4:5], s[14:15], v[18:19]
	v_add_nc_u64_e32 v[20:21], s[16:17], v[18:19]
	v_mov_b64_e32 v[18:19], 0
	s_branch .LBB5_9
.LBB5_8:                                ;   in Loop: Header=BB5_9 Depth=1
	s_or_b32 exec_lo, exec_lo, s0
	v_add_nc_u64_e32 v[2:3], 8, v[2:3]
	v_add_nc_u64_e32 v[4:5], 64, v[4:5]
	;; [unrolled: 1-line block ×3, first 2 shown]
	s_delay_alu instid0(VALU_DEP_3) | instskip(SKIP_1) | instid1(SALU_CYCLE_1)
	v_cmp_ge_i64_e64 s0, v[2:3], v[0:1]
	s_or_b32 s8, s0, s8
	s_and_not1_b32 exec_lo, exec_lo, s8
	s_cbranch_execz .LBB5_13
.LBB5_9:                                ; =>This Inner Loop Header: Depth=1
	v_add_nc_u64_e32 v[26:27], v[16:17], v[2:3]
	v_mov_b64_e32 v[24:25], 0
	s_barrier_signal -1
	s_barrier_wait -1
	s_delay_alu instid0(VALU_DEP_2)
	v_cmp_lt_i64_e64 s0, v[26:27], v[0:1]
	v_mov_b64_e32 v[26:27], 0
	s_and_saveexec_b32 s9, s0
	s_cbranch_execz .LBB5_11
; %bb.10:                               ;   in Loop: Header=BB5_9 Depth=1
	global_load_b64 v[24:25], v[4:5], off
	global_load_b64 v[26:27], v[20:21], off
	s_wait_loadcnt 0x1
	v_sub_nc_u64_e64 v[24:25], v[24:25], s[4:5]
.LBB5_11:                               ;   in Loop: Header=BB5_9 Depth=1
	s_wait_xcnt 0x0
	s_or_b32 exec_lo, exec_lo, s9
	ds_store_b64 v28, v[24:25]
	s_wait_loadcnt 0x0
	ds_store_b64 v30, v[26:27]
	s_wait_dscnt 0x0
	s_barrier_signal -1
	s_barrier_wait -1
	s_and_saveexec_b32 s0, vcc_lo
	s_cbranch_execz .LBB5_8
; %bb.12:                               ;   in Loop: Header=BB5_9 Depth=1
	ds_load_b128 v[24:27], v13
	ds_load_b128 v[32:35], v13 offset:16
	s_wait_dscnt 0x1
	v_lshl_add_u64 v[24:25], v[24:25], 3, v[22:23]
	global_load_b64 v[36:37], v[24:25], off
	s_wait_xcnt 0x0
	v_lshl_add_u64 v[24:25], v[26:27], 3, v[22:23]
	global_load_b64 v[38:39], v[24:25], off
	s_wait_dscnt 0x0
	s_wait_xcnt 0x0
	v_lshl_add_u64 v[24:25], v[32:33], 3, v[22:23]
	global_load_b64 v[40:41], v[24:25], off
	s_wait_xcnt 0x0
	v_lshl_add_u64 v[24:25], v[34:35], 3, v[22:23]
	global_load_b64 v[42:43], v[24:25], off
	s_wait_xcnt 0x0
	ds_load_b128 v[24:27], v13 offset:32
	ds_load_b128 v[32:35], v13 offset:48
	s_wait_dscnt 0x1
	v_lshl_add_u64 v[24:25], v[24:25], 3, v[22:23]
	global_load_b64 v[44:45], v[24:25], off
	s_wait_xcnt 0x0
	v_lshl_add_u64 v[24:25], v[26:27], 3, v[22:23]
	global_load_b64 v[46:47], v[24:25], off
	s_wait_dscnt 0x0
	s_wait_xcnt 0x0
	v_lshl_add_u64 v[24:25], v[32:33], 3, v[22:23]
	global_load_b64 v[48:49], v[24:25], off
	s_wait_xcnt 0x0
	v_lshl_add_u64 v[24:25], v[34:35], 3, v[22:23]
	global_load_b64 v[50:51], v[24:25], off
	s_wait_xcnt 0x0
	ds_load_b128 v[24:27], v29
	ds_load_b128 v[32:35], v29 offset:16
	s_wait_loadcnt_dscnt 0x701
	v_fmac_f64_e32 v[18:19], v[24:25], v[36:37]
	s_wait_loadcnt 0x6
	s_delay_alu instid0(VALU_DEP_1) | instskip(SKIP_1) | instid1(VALU_DEP_1)
	v_fmac_f64_e32 v[18:19], v[26:27], v[38:39]
	s_wait_loadcnt_dscnt 0x500
	v_fmac_f64_e32 v[18:19], v[32:33], v[40:41]
	s_wait_loadcnt 0x4
	s_delay_alu instid0(VALU_DEP_1)
	v_fmac_f64_e32 v[18:19], v[34:35], v[42:43]
	ds_load_b128 v[24:27], v29 offset:32
	ds_load_b128 v[32:35], v29 offset:48
	s_wait_loadcnt_dscnt 0x301
	v_fmac_f64_e32 v[18:19], v[24:25], v[44:45]
	s_wait_loadcnt 0x2
	s_delay_alu instid0(VALU_DEP_1) | instskip(SKIP_1) | instid1(VALU_DEP_1)
	v_fmac_f64_e32 v[18:19], v[26:27], v[46:47]
	s_wait_loadcnt_dscnt 0x100
	v_fmac_f64_e32 v[18:19], v[32:33], v[48:49]
	s_wait_loadcnt 0x0
	s_delay_alu instid0(VALU_DEP_1)
	v_fmac_f64_e32 v[18:19], v[34:35], v[50:51]
	s_branch .LBB5_8
.LBB5_13:
	s_or_b32 exec_lo, exec_lo, s8
.LBB5_14:
	s_delay_alu instid0(SALU_CYCLE_1)
	s_or_b32 exec_lo, exec_lo, s1
	v_cmp_gt_i64_e32 vcc_lo, s[6:7], v[14:15]
	s_and_b32 exec_lo, exec_lo, vcc_lo
	s_cbranch_execz .LBB5_25
; %bb.15:
	v_mul_f64_e32 v[0:1], v[8:9], v[18:19]
	s_wait_kmcnt 0x0
	s_cmp_lg_u32 s30, 1
	s_mul_u64 s[0:1], s[28:29], s[2:3]
	s_cselect_b32 s4, -1, 0
	s_mov_b32 s2, exec_lo
	v_cmpx_neq_f64_e32 0, v[6:7]
	s_xor_b32 s2, exec_lo, s2
	s_cbranch_execz .LBB5_20
; %bb.16:
	s_and_b32 vcc_lo, exec_lo, s4
	s_mov_b32 s3, -1
	s_cbranch_vccz .LBB5_18
; %bb.17:
	v_mul_u64_e32 v[2:3], s[26:27], v[10:11]
	s_mov_b32 s3, 0
	s_delay_alu instid0(VALU_DEP_1) | instskip(NEXT) | instid1(VALU_DEP_1)
	v_lshl_add_u64 v[2:3], v[2:3], 3, s[24:25]
	v_lshl_add_u64 v[2:3], v[14:15], 3, v[2:3]
	s_delay_alu instid0(VALU_DEP_1)
	v_lshl_add_u64 v[2:3], s[0:1], 3, v[2:3]
	global_load_b64 v[4:5], v[2:3], off
	s_wait_loadcnt 0x0
	v_fma_f64 v[4:5], v[6:7], v[4:5], v[0:1]
	global_store_b64 v[2:3], v[4:5], off
.LBB5_18:
	s_and_not1_b32 vcc_lo, exec_lo, s3
                                        ; implicit-def: $vgpr10_vgpr11
	s_cbranch_vccnz .LBB5_20
; %bb.19:
	s_wait_xcnt 0x0
	v_mul_u64_e32 v[2:3], s[26:27], v[14:15]
	v_mov_b32_e32 v13, 0
                                        ; implicit-def: $vgpr14_vgpr15
                                        ; implicit-def: $vgpr10_vgpr11
	s_delay_alu instid0(VALU_DEP_2) | instskip(NEXT) | instid1(VALU_DEP_1)
	v_lshl_add_u64 v[2:3], v[2:3], 3, s[24:25]
	v_add_nc_u64_e32 v[2:3], v[2:3], v[12:13]
                                        ; implicit-def: $vgpr12
	s_delay_alu instid0(VALU_DEP_1)
	v_lshl_add_u64 v[2:3], s[0:1], 3, v[2:3]
	global_load_b64 v[4:5], v[2:3], off
	s_wait_loadcnt 0x0
	v_fmac_f64_e32 v[0:1], v[6:7], v[4:5]
	global_store_b64 v[2:3], v[0:1], off
                                        ; implicit-def: $vgpr0_vgpr1
.LBB5_20:
	s_wait_xcnt 0x0
	s_and_not1_saveexec_b32 s2, s2
	s_cbranch_execz .LBB5_25
; %bb.21:
	s_and_b32 vcc_lo, exec_lo, s4
	s_mov_b32 s2, -1
	s_cbranch_vccz .LBB5_23
; %bb.22:
	v_mul_u64_e32 v[2:3], s[26:27], v[10:11]
	s_mov_b32 s2, 0
	s_delay_alu instid0(VALU_DEP_1) | instskip(NEXT) | instid1(VALU_DEP_1)
	v_lshl_add_u64 v[2:3], v[2:3], 3, s[24:25]
	v_lshl_add_u64 v[2:3], v[14:15], 3, v[2:3]
	s_delay_alu instid0(VALU_DEP_1)
	v_lshl_add_u64 v[2:3], s[0:1], 3, v[2:3]
	global_store_b64 v[2:3], v[0:1], off
.LBB5_23:
	s_and_not1_b32 vcc_lo, exec_lo, s2
	s_cbranch_vccnz .LBB5_25
; %bb.24:
	s_wait_xcnt 0x0
	v_mul_u64_e32 v[2:3], s[26:27], v[14:15]
	v_mov_b32_e32 v13, 0
	s_delay_alu instid0(VALU_DEP_2) | instskip(NEXT) | instid1(VALU_DEP_1)
	v_lshl_add_u64 v[2:3], v[2:3], 3, s[24:25]
	v_add_nc_u64_e32 v[2:3], v[2:3], v[12:13]
	s_delay_alu instid0(VALU_DEP_1)
	v_lshl_add_u64 v[2:3], s[0:1], 3, v[2:3]
	global_store_b64 v[2:3], v[0:1], off
.LBB5_25:
	s_endpgm
	.section	.rodata,"a",@progbits
	.p2align	6, 0x0
	.amdhsa_kernel _ZN9rocsparse31csrmmnn_row_split_shared_kernelILj256ELj8EdlldddEEvNS_24const_host_device_scalarIT1_EES3_bbbT3_S4_llPKT2_PKS4_PKT4_PKT5_llPT6_ll16rocsparse_order_21rocsparse_index_base_
		.amdhsa_group_segment_fixed_size 4096
		.amdhsa_private_segment_fixed_size 0
		.amdhsa_kernarg_size 136
		.amdhsa_user_sgpr_count 2
		.amdhsa_user_sgpr_dispatch_ptr 0
		.amdhsa_user_sgpr_queue_ptr 0
		.amdhsa_user_sgpr_kernarg_segment_ptr 1
		.amdhsa_user_sgpr_dispatch_id 0
		.amdhsa_user_sgpr_kernarg_preload_length 0
		.amdhsa_user_sgpr_kernarg_preload_offset 0
		.amdhsa_user_sgpr_private_segment_size 0
		.amdhsa_wavefront_size32 1
		.amdhsa_uses_dynamic_stack 0
		.amdhsa_enable_private_segment 0
		.amdhsa_system_sgpr_workgroup_id_x 1
		.amdhsa_system_sgpr_workgroup_id_y 1
		.amdhsa_system_sgpr_workgroup_id_z 1
		.amdhsa_system_sgpr_workgroup_info 0
		.amdhsa_system_vgpr_workitem_id 0
		.amdhsa_next_free_vgpr 52
		.amdhsa_next_free_sgpr 34
		.amdhsa_named_barrier_count 0
		.amdhsa_reserve_vcc 1
		.amdhsa_float_round_mode_32 0
		.amdhsa_float_round_mode_16_64 0
		.amdhsa_float_denorm_mode_32 3
		.amdhsa_float_denorm_mode_16_64 3
		.amdhsa_fp16_overflow 0
		.amdhsa_memory_ordered 1
		.amdhsa_forward_progress 1
		.amdhsa_inst_pref_size 12
		.amdhsa_round_robin_scheduling 0
		.amdhsa_exception_fp_ieee_invalid_op 0
		.amdhsa_exception_fp_denorm_src 0
		.amdhsa_exception_fp_ieee_div_zero 0
		.amdhsa_exception_fp_ieee_overflow 0
		.amdhsa_exception_fp_ieee_underflow 0
		.amdhsa_exception_fp_ieee_inexact 0
		.amdhsa_exception_int_div_zero 0
	.end_amdhsa_kernel
	.section	.text._ZN9rocsparse31csrmmnn_row_split_shared_kernelILj256ELj8EdlldddEEvNS_24const_host_device_scalarIT1_EES3_bbbT3_S4_llPKT2_PKS4_PKT4_PKT5_llPT6_ll16rocsparse_order_21rocsparse_index_base_,"axG",@progbits,_ZN9rocsparse31csrmmnn_row_split_shared_kernelILj256ELj8EdlldddEEvNS_24const_host_device_scalarIT1_EES3_bbbT3_S4_llPKT2_PKS4_PKT4_PKT5_llPT6_ll16rocsparse_order_21rocsparse_index_base_,comdat
.Lfunc_end5:
	.size	_ZN9rocsparse31csrmmnn_row_split_shared_kernelILj256ELj8EdlldddEEvNS_24const_host_device_scalarIT1_EES3_bbbT3_S4_llPKT2_PKS4_PKT4_PKT5_llPT6_ll16rocsparse_order_21rocsparse_index_base_, .Lfunc_end5-_ZN9rocsparse31csrmmnn_row_split_shared_kernelILj256ELj8EdlldddEEvNS_24const_host_device_scalarIT1_EES3_bbbT3_S4_llPKT2_PKS4_PKT4_PKT5_llPT6_ll16rocsparse_order_21rocsparse_index_base_
                                        ; -- End function
	.set _ZN9rocsparse31csrmmnn_row_split_shared_kernelILj256ELj8EdlldddEEvNS_24const_host_device_scalarIT1_EES3_bbbT3_S4_llPKT2_PKS4_PKT4_PKT5_llPT6_ll16rocsparse_order_21rocsparse_index_base_.num_vgpr, 52
	.set _ZN9rocsparse31csrmmnn_row_split_shared_kernelILj256ELj8EdlldddEEvNS_24const_host_device_scalarIT1_EES3_bbbT3_S4_llPKT2_PKS4_PKT4_PKT5_llPT6_ll16rocsparse_order_21rocsparse_index_base_.num_agpr, 0
	.set _ZN9rocsparse31csrmmnn_row_split_shared_kernelILj256ELj8EdlldddEEvNS_24const_host_device_scalarIT1_EES3_bbbT3_S4_llPKT2_PKS4_PKT4_PKT5_llPT6_ll16rocsparse_order_21rocsparse_index_base_.numbered_sgpr, 34
	.set _ZN9rocsparse31csrmmnn_row_split_shared_kernelILj256ELj8EdlldddEEvNS_24const_host_device_scalarIT1_EES3_bbbT3_S4_llPKT2_PKS4_PKT4_PKT5_llPT6_ll16rocsparse_order_21rocsparse_index_base_.num_named_barrier, 0
	.set _ZN9rocsparse31csrmmnn_row_split_shared_kernelILj256ELj8EdlldddEEvNS_24const_host_device_scalarIT1_EES3_bbbT3_S4_llPKT2_PKS4_PKT4_PKT5_llPT6_ll16rocsparse_order_21rocsparse_index_base_.private_seg_size, 0
	.set _ZN9rocsparse31csrmmnn_row_split_shared_kernelILj256ELj8EdlldddEEvNS_24const_host_device_scalarIT1_EES3_bbbT3_S4_llPKT2_PKS4_PKT4_PKT5_llPT6_ll16rocsparse_order_21rocsparse_index_base_.uses_vcc, 1
	.set _ZN9rocsparse31csrmmnn_row_split_shared_kernelILj256ELj8EdlldddEEvNS_24const_host_device_scalarIT1_EES3_bbbT3_S4_llPKT2_PKS4_PKT4_PKT5_llPT6_ll16rocsparse_order_21rocsparse_index_base_.uses_flat_scratch, 0
	.set _ZN9rocsparse31csrmmnn_row_split_shared_kernelILj256ELj8EdlldddEEvNS_24const_host_device_scalarIT1_EES3_bbbT3_S4_llPKT2_PKS4_PKT4_PKT5_llPT6_ll16rocsparse_order_21rocsparse_index_base_.has_dyn_sized_stack, 0
	.set _ZN9rocsparse31csrmmnn_row_split_shared_kernelILj256ELj8EdlldddEEvNS_24const_host_device_scalarIT1_EES3_bbbT3_S4_llPKT2_PKS4_PKT4_PKT5_llPT6_ll16rocsparse_order_21rocsparse_index_base_.has_recursion, 0
	.set _ZN9rocsparse31csrmmnn_row_split_shared_kernelILj256ELj8EdlldddEEvNS_24const_host_device_scalarIT1_EES3_bbbT3_S4_llPKT2_PKS4_PKT4_PKT5_llPT6_ll16rocsparse_order_21rocsparse_index_base_.has_indirect_call, 0
	.section	.AMDGPU.csdata,"",@progbits
; Kernel info:
; codeLenInByte = 1440
; TotalNumSgprs: 36
; NumVgprs: 52
; ScratchSize: 0
; MemoryBound: 0
; FloatMode: 240
; IeeeMode: 1
; LDSByteSize: 4096 bytes/workgroup (compile time only)
; SGPRBlocks: 0
; VGPRBlocks: 3
; NumSGPRsForWavesPerEU: 36
; NumVGPRsForWavesPerEU: 52
; NamedBarCnt: 0
; Occupancy: 16
; WaveLimiterHint : 0
; COMPUTE_PGM_RSRC2:SCRATCH_EN: 0
; COMPUTE_PGM_RSRC2:USER_SGPR: 2
; COMPUTE_PGM_RSRC2:TRAP_HANDLER: 0
; COMPUTE_PGM_RSRC2:TGID_X_EN: 1
; COMPUTE_PGM_RSRC2:TGID_Y_EN: 1
; COMPUTE_PGM_RSRC2:TGID_Z_EN: 1
; COMPUTE_PGM_RSRC2:TIDIG_COMP_CNT: 0
	.section	.text._ZN9rocsparse31csrmmnn_row_split_shared_kernelILj256ELj8E21rocsparse_complex_numIfEiiS2_S2_S2_EEvNS_24const_host_device_scalarIT1_EES5_bbbT3_S6_llPKT2_PKS6_PKT4_PKT5_llPT6_ll16rocsparse_order_21rocsparse_index_base_,"axG",@progbits,_ZN9rocsparse31csrmmnn_row_split_shared_kernelILj256ELj8E21rocsparse_complex_numIfEiiS2_S2_S2_EEvNS_24const_host_device_scalarIT1_EES5_bbbT3_S6_llPKT2_PKS6_PKT4_PKT5_llPT6_ll16rocsparse_order_21rocsparse_index_base_,comdat
	.protected	_ZN9rocsparse31csrmmnn_row_split_shared_kernelILj256ELj8E21rocsparse_complex_numIfEiiS2_S2_S2_EEvNS_24const_host_device_scalarIT1_EES5_bbbT3_S6_llPKT2_PKS6_PKT4_PKT5_llPT6_ll16rocsparse_order_21rocsparse_index_base_ ; -- Begin function _ZN9rocsparse31csrmmnn_row_split_shared_kernelILj256ELj8E21rocsparse_complex_numIfEiiS2_S2_S2_EEvNS_24const_host_device_scalarIT1_EES5_bbbT3_S6_llPKT2_PKS6_PKT4_PKT5_llPT6_ll16rocsparse_order_21rocsparse_index_base_
	.globl	_ZN9rocsparse31csrmmnn_row_split_shared_kernelILj256ELj8E21rocsparse_complex_numIfEiiS2_S2_S2_EEvNS_24const_host_device_scalarIT1_EES5_bbbT3_S6_llPKT2_PKS6_PKT4_PKT5_llPT6_ll16rocsparse_order_21rocsparse_index_base_
	.p2align	8
	.type	_ZN9rocsparse31csrmmnn_row_split_shared_kernelILj256ELj8E21rocsparse_complex_numIfEiiS2_S2_S2_EEvNS_24const_host_device_scalarIT1_EES5_bbbT3_S6_llPKT2_PKS6_PKT4_PKT5_llPT6_ll16rocsparse_order_21rocsparse_index_base_,@function
_ZN9rocsparse31csrmmnn_row_split_shared_kernelILj256ELj8E21rocsparse_complex_numIfEiiS2_S2_S2_EEvNS_24const_host_device_scalarIT1_EES5_bbbT3_S6_llPKT2_PKS6_PKT4_PKT5_llPT6_ll16rocsparse_order_21rocsparse_index_base_: ; @_ZN9rocsparse31csrmmnn_row_split_shared_kernelILj256ELj8E21rocsparse_complex_numIfEiiS2_S2_S2_EEvNS_24const_host_device_scalarIT1_EES5_bbbT3_S6_llPKT2_PKS6_PKT4_PKT5_llPT6_ll16rocsparse_order_21rocsparse_index_base_
; %bb.0:
	s_clause 0x1
	s_load_b32 s23, s[0:1], 0x10
	s_load_b128 s[4:7], s[0:1], 0x0
	s_or_b64 s[2:3], s[0:1], 8
	v_mov_b32_e32 v1, 0
	s_wait_kmcnt 0x0
	s_bitcmp1_b32 s23, 0
	s_cselect_b32 s5, s1, s5
	s_cselect_b32 s4, s0, s4
	;; [unrolled: 1-line block ×4, first 2 shown]
	s_clause 0x1
	flat_load_b64 v[6:7], v1, s[4:5]
	flat_load_b64 v[4:5], v1, s[2:3]
	s_wait_loadcnt_dscnt 0x101
	s_wait_xcnt 0x0
	v_cmp_eq_f32_e64 s2, 0, v6
	v_cmp_eq_f32_e64 s3, 0, v7
	s_wait_loadcnt_dscnt 0x0
	v_cmp_eq_f32_e64 s4, 1.0, v4
	v_cmp_eq_f32_e32 vcc_lo, 0, v5
	s_and_b32 s2, s2, s3
	s_and_b32 s3, s4, vcc_lo
	s_delay_alu instid0(SALU_CYCLE_1) | instskip(NEXT) | instid1(SALU_CYCLE_1)
	s_and_b32 s2, s2, s3
	s_xor_b32 s2, s2, -1
	s_delay_alu instid0(SALU_CYCLE_1)
	s_and_saveexec_b32 s3, s2
	s_cbranch_execz .LBB6_21
; %bb.1:
	s_bfe_u32 s2, ttmp6, 0x4000c
	s_load_b96 s[20:22], s[0:1], 0x10
	s_add_co_i32 s2, s2, 1
	s_and_b32 s4, ttmp6, 15
	s_mul_i32 s2, ttmp9, s2
	s_getreg_b32 s3, hwreg(HW_REG_IB_STS2, 6, 4)
	s_add_co_i32 s4, s4, s2
	s_cmp_eq_u32 s3, 0
	s_cselect_b32 s2, ttmp9, s4
	s_delay_alu instid0(SALU_CYCLE_1) | instskip(NEXT) | instid1(VALU_DEP_1)
	v_lshl_or_b32 v1, s2, 8, v0
	v_lshrrev_b32_e32 v2, 3, v1
	s_wait_kmcnt 0x0
	s_delay_alu instid0(VALU_DEP_1)
	v_cmp_gt_i32_e64 s2, s21, v2
	s_and_b32 exec_lo, exec_lo, s2
	s_cbranch_execz .LBB6_21
; %bb.2:
	s_load_b512 s[4:19], s[0:1], 0x20
	s_bfe_u32 s21, ttmp6, 0x40014
	s_bfe_u32 s25, ttmp6, 0x40010
	s_lshr_b32 s2, ttmp7, 16
	s_and_b32 s26, ttmp7, 0xffff
	s_add_co_i32 s21, s21, 1
	s_add_co_i32 s25, s25, 1
	s_bfe_u32 s24, ttmp6, 0x40008
	s_bfe_u32 s27, ttmp6, 0x40004
	s_mul_i32 s21, s2, s21
	s_mul_i32 s25, s26, s25
	s_add_co_i32 s24, s24, s21
	s_add_co_i32 s27, s27, s25
	s_cmp_eq_u32 s3, 0
	s_mov_b32 s25, 0
	s_cselect_b32 s24, s2, s24
	v_dual_lshlrev_b32 v1, 2, v2 :: v_dual_bitop2_b32 v16, 7, v0 bitop3:0x40
	s_wait_kmcnt 0x0
	s_mul_u64 s[2:3], s[4:5], s[24:25]
	s_cselect_b32 s4, s26, s27
	s_lshl_b64 s[2:3], s[2:3], 2
	v_lshl_or_b32 v8, s4, 3, v16
	s_add_nc_u64 s[2:3], s[8:9], s[2:3]
	s_load_b64 s[8:9], s[0:1], 0x78
	global_load_b64 v[12:13], v1, s[2:3]
	v_dual_mov_b32 v3, 0 :: v_dual_ashrrev_i32 v9, 31, v8
	s_mov_b32 s5, exec_lo
	s_delay_alu instid0(VALU_DEP_1)
	v_dual_mov_b32 v11, v3 :: v_dual_mov_b32 v10, v3
	s_wait_loadcnt 0x0
	v_cmpx_lt_i32_e64 v12, v13
	s_cbranch_execz .LBB6_10
; %bb.3:
	v_mul_u64_e32 v[14:15], s[16:17], v[8:9]
	v_dual_lshrrev_b32 v0, 3, v0 :: v_dual_mov_b32 v10, 0
	s_mul_u64 s[16:17], s[18:19], s[24:25]
	s_bitcmp1_b32 s23, 8
	s_wait_kmcnt 0x0
	v_subrev_nc_u32_e32 v17, s9, v13
	v_lshl_or_b32 v19, v0, 5, 0x800
	v_dual_mov_b32 v11, v10 :: v_dual_lshlrev_b32 v20, 6, v0
	v_subrev_nc_u32_e32 v18, s9, v12
	v_cmp_gt_i32_e64 s2, s22, v8
	s_delay_alu instid0(VALU_DEP_4) | instskip(NEXT) | instid1(VALU_DEP_4)
	v_lshl_or_b32 v21, v16, 2, v19
	v_lshl_or_b32 v22, v16, 3, v20
	s_cselect_b32 s3, -1, 0
	s_bitcmp1_b32 s20, 16
	s_mul_u64 s[6:7], s[6:7], s[24:25]
	v_lshl_add_u64 v[0:1], v[14:15], 3, s[14:15]
	s_cselect_b32 s14, -1, 0
	s_mov_b32 s15, s25
	s_delay_alu instid0(VALU_DEP_1)
	v_lshl_add_u64 v[0:1], s[16:17], 3, v[0:1]
	s_branch .LBB6_5
.LBB6_4:                                ;   in Loop: Header=BB6_5 Depth=1
	s_or_b32 exec_lo, exec_lo, s4
	v_add_nc_u32_e32 v18, 8, v18
	s_delay_alu instid0(VALU_DEP_1) | instskip(SKIP_1) | instid1(SALU_CYCLE_1)
	v_cmp_ge_i32_e64 s4, v18, v17
	s_or_b32 s15, s4, s15
	s_and_not1_b32 exec_lo, exec_lo, s15
	s_cbranch_execz .LBB6_9
.LBB6_5:                                ; =>This Inner Loop Header: Depth=1
	v_dual_mov_b32 v15, 0 :: v_dual_add_nc_u32 v14, v16, v18
	v_dual_mov_b32 v12, 0 :: v_dual_mov_b32 v13, 0
	s_mov_b32 s16, exec_lo
	s_barrier_signal -1
	s_barrier_wait -1
	v_cmpx_lt_i32_e64 v14, v17
	s_cbranch_execz .LBB6_7
; %bb.6:                                ;   in Loop: Header=BB6_5 Depth=1
	v_ashrrev_i32_e32 v15, 31, v14
	s_delay_alu instid0(VALU_DEP_1) | instskip(NEXT) | instid1(VALU_DEP_1)
	v_add_nc_u64_e32 v[12:13], s[6:7], v[14:15]
	v_lshl_add_u64 v[14:15], v[12:13], 3, s[12:13]
	v_lshl_add_u64 v[24:25], v[12:13], 2, s[10:11]
	global_load_b64 v[12:13], v[14:15], off
	global_load_b32 v23, v[24:25], off
	s_wait_loadcnt 0x1
	s_wait_xcnt 0x1
	v_xor_b32_e32 v14, 0x80000000, v13
	s_wait_loadcnt 0x0
	v_subrev_nc_u32_e32 v15, s9, v23
	s_delay_alu instid0(VALU_DEP_2)
	v_cndmask_b32_e64 v13, v13, v14, s3
.LBB6_7:                                ;   in Loop: Header=BB6_5 Depth=1
	s_or_b32 exec_lo, exec_lo, s16
	ds_store_b32 v21, v15
	ds_store_b64 v22, v[12:13]
	s_wait_dscnt 0x0
	s_barrier_signal -1
	s_barrier_wait -1
	s_and_saveexec_b32 s4, s2
	s_cbranch_execz .LBB6_4
; %bb.8:                                ;   in Loop: Header=BB6_5 Depth=1
	ds_load_b128 v[12:15], v19
	ds_load_b128 v[24:27], v19 offset:16
	s_wait_dscnt 0x1
	v_dual_mov_b32 v28, v12 :: v_dual_ashrrev_i32 v29, 31, v12
	v_dual_mov_b32 v30, v13 :: v_dual_ashrrev_i32 v31, 31, v13
	s_delay_alu instid0(VALU_DEP_2) | instskip(NEXT) | instid1(VALU_DEP_2)
	v_lshl_add_u64 v[28:29], v[28:29], 3, v[0:1]
	v_lshl_add_u64 v[12:13], v[30:31], 3, v[0:1]
	v_dual_mov_b32 v30, v14 :: v_dual_ashrrev_i32 v31, 31, v14
	global_load_b64 v[28:29], v[28:29], off
	s_wait_dscnt 0x0
	v_mov_b32_e32 v14, v24
	global_load_b64 v[32:33], v[12:13], off
	s_wait_xcnt 0x0
	v_lshl_add_u64 v[12:13], v[30:31], 3, v[0:1]
	v_dual_mov_b32 v30, v15 :: v_dual_ashrrev_i32 v31, 31, v15
	v_ashrrev_i32_e32 v15, 31, v24
	global_load_b64 v[34:35], v[12:13], off
	s_wait_xcnt 0x0
	v_lshl_add_u64 v[12:13], v[30:31], 3, v[0:1]
	global_load_b64 v[30:31], v[12:13], off
	s_wait_xcnt 0x0
	v_lshl_add_u64 v[12:13], v[14:15], 3, v[0:1]
	v_dual_mov_b32 v14, v25 :: v_dual_ashrrev_i32 v15, 31, v25
	global_load_b64 v[36:37], v[12:13], off
	s_wait_xcnt 0x0
	v_lshl_add_u64 v[12:13], v[14:15], 3, v[0:1]
	v_dual_mov_b32 v14, v26 :: v_dual_ashrrev_i32 v15, 31, v26
	global_load_b64 v[38:39], v[12:13], off
	s_wait_xcnt 0x0
	v_lshl_add_u64 v[12:13], v[14:15], 3, v[0:1]
	v_dual_mov_b32 v14, v27 :: v_dual_ashrrev_i32 v15, 31, v27
	global_load_b64 v[40:41], v[12:13], off
	s_wait_xcnt 0x0
	v_lshl_add_u64 v[12:13], v[14:15], 3, v[0:1]
	global_load_b64 v[42:43], v[12:13], off
	s_wait_xcnt 0x0
	ds_load_b128 v[12:15], v20
	ds_load_b128 v[24:27], v20 offset:16
	s_wait_loadcnt 0x7
	v_cndmask_b32_e64 v44, v29, -v29, s14
	s_wait_dscnt 0x1
	v_pk_fma_f32 v[10:11], v[12:13], v[28:29], v[10:11] op_sel_hi:[1,0,1]
	s_wait_loadcnt 0x6
	v_cndmask_b32_e64 v28, v33, -v33, s14
	s_delay_alu instid0(VALU_DEP_2) | instskip(SKIP_2) | instid1(VALU_DEP_3)
	v_pk_fma_f32 v[10:11], v[12:13], v[44:45], v[10:11] op_sel:[1,0,0] op_sel_hi:[0,0,1] neg_lo:[1,0,0]
	v_xor_b32_e32 v12, 0x80000000, v15
	v_mov_b32_e32 v13, v14
	v_pk_fma_f32 v[10:11], v[14:15], v[32:33], v[10:11] op_sel_hi:[1,0,1]
	s_delay_alu instid0(VALU_DEP_1)
	v_pk_fma_f32 v[14:15], v[12:13], v[28:29], v[10:11] op_sel_hi:[1,0,1]
	ds_load_b128 v[10:13], v20 offset:32
	s_wait_loadcnt 0x5
	v_cndmask_b32_e64 v28, v35, -v35, s14
	s_wait_dscnt 0x1
	v_pk_fma_f32 v[14:15], v[24:25], v[34:35], v[14:15] op_sel_hi:[1,0,1]
	s_delay_alu instid0(VALU_DEP_1) | instskip(SKIP_3) | instid1(VALU_DEP_3)
	v_pk_fma_f32 v[14:15], v[24:25], v[28:29], v[14:15] op_sel:[1,0,0] op_sel_hi:[0,0,1] neg_lo:[1,0,0]
	v_xor_b32_e32 v24, 0x80000000, v27
	s_wait_loadcnt 0x4
	v_dual_mov_b32 v25, v26 :: v_dual_cndmask_b32 v28, v31, -v31, s14
	v_pk_fma_f32 v[14:15], v[26:27], v[30:31], v[14:15] op_sel_hi:[1,0,1]
	s_delay_alu instid0(VALU_DEP_1)
	v_pk_fma_f32 v[14:15], v[24:25], v[28:29], v[14:15] op_sel_hi:[1,0,1]
	ds_load_b128 v[24:27], v20 offset:48
	s_wait_loadcnt 0x3
	v_cndmask_b32_e64 v28, v37, -v37, s14
	s_wait_dscnt 0x1
	v_pk_fma_f32 v[14:15], v[10:11], v[36:37], v[14:15] op_sel_hi:[1,0,1]
	s_delay_alu instid0(VALU_DEP_1) | instskip(SKIP_3) | instid1(VALU_DEP_3)
	v_pk_fma_f32 v[10:11], v[10:11], v[28:29], v[14:15] op_sel:[1,0,0] op_sel_hi:[0,0,1] neg_lo:[1,0,0]
	v_xor_b32_e32 v14, 0x80000000, v13
	s_wait_loadcnt 0x2
	v_dual_mov_b32 v15, v12 :: v_dual_cndmask_b32 v28, v39, -v39, s14
	v_pk_fma_f32 v[10:11], v[12:13], v[38:39], v[10:11] op_sel_hi:[1,0,1]
	s_wait_loadcnt 0x1
	v_cndmask_b32_e64 v12, v41, -v41, s14
	s_delay_alu instid0(VALU_DEP_2) | instskip(SKIP_3) | instid1(VALU_DEP_2)
	v_pk_fma_f32 v[10:11], v[14:15], v[28:29], v[10:11] op_sel_hi:[1,0,1]
	s_wait_loadcnt 0x0
	v_cndmask_b32_e64 v14, v43, -v43, s14
	s_wait_dscnt 0x0
	v_pk_fma_f32 v[10:11], v[24:25], v[40:41], v[10:11] op_sel_hi:[1,0,1]
	s_delay_alu instid0(VALU_DEP_1) | instskip(SKIP_2) | instid1(VALU_DEP_3)
	v_pk_fma_f32 v[10:11], v[24:25], v[12:13], v[10:11] op_sel:[1,0,0] op_sel_hi:[0,0,1] neg_lo:[1,0,0]
	v_xor_b32_e32 v12, 0x80000000, v27
	v_mov_b32_e32 v13, v26
	v_pk_fma_f32 v[10:11], v[26:27], v[42:43], v[10:11] op_sel_hi:[1,0,1]
	s_delay_alu instid0(VALU_DEP_1)
	v_pk_fma_f32 v[10:11], v[12:13], v[14:15], v[10:11] op_sel_hi:[1,0,1]
	s_branch .LBB6_4
.LBB6_9:
	s_or_b32 exec_lo, exec_lo, s15
.LBB6_10:
	s_delay_alu instid0(SALU_CYCLE_1)
	s_or_b32 exec_lo, exec_lo, s5
	v_cmp_gt_i32_e64 s2, s22, v8
	s_and_b32 exec_lo, exec_lo, s2
	s_cbranch_execz .LBB6_21
; %bb.11:
	s_clause 0x1
	s_load_b64 s[10:11], s[0:1], 0x70
	s_load_b128 s[4:7], s[0:1], 0x60
	s_wait_xcnt 0x0
	v_cmp_neq_f32_e64 s0, 0, v4
	s_xor_b32 s1, vcc_lo, -1
	v_xor_b32_e32 v14, 0x80000000, v7
	s_or_b32 s3, s0, s1
	s_wait_kmcnt 0x0
	s_cmp_lg_u32 s8, 1
	s_mov_b32 s8, -1
	s_cselect_b32 s2, -1, 0
	s_mul_u64 s[0:1], s[10:11], s[24:25]
	s_and_saveexec_b32 s9, s3
	s_delay_alu instid0(SALU_CYCLE_1)
	s_xor_b32 s3, exec_lo, s9
	s_cbranch_execz .LBB6_16
; %bb.12:
	v_mov_b32_e32 v15, v6
	s_and_b32 vcc_lo, exec_lo, s2
	s_delay_alu instid0(VALU_DEP_1) | instskip(NEXT) | instid1(VALU_DEP_1)
	v_pk_mul_f32 v[0:1], v[10:11], v[14:15] op_sel:[1,0]
	v_pk_fma_f32 v[12:13], v[6:7], v[10:11], v[0:1] op_sel_hi:[1,0,1]
	v_xor_b32_e32 v0, 0x80000000, v5
	s_cbranch_vccz .LBB6_14
; %bb.13:
	v_mul_u64_e32 v[6:7], s[6:7], v[2:3]
	v_mov_b32_e32 v1, v4
	s_mov_b32 s8, 0
	s_delay_alu instid0(VALU_DEP_2) | instskip(NEXT) | instid1(VALU_DEP_1)
	v_lshl_add_u64 v[6:7], v[6:7], 3, s[4:5]
	v_lshl_add_u64 v[6:7], v[8:9], 3, v[6:7]
	s_delay_alu instid0(VALU_DEP_1) | instskip(SKIP_3) | instid1(VALU_DEP_1)
	v_lshl_add_u64 v[6:7], s[0:1], 3, v[6:7]
	global_load_b64 v[10:11], v[6:7], off
	s_wait_loadcnt 0x0
	v_pk_fma_f32 v[14:15], v[4:5], v[10:11], v[12:13] op_sel_hi:[1,0,1]
	v_pk_fma_f32 v[10:11], v[0:1], v[10:11], v[14:15] op_sel:[0,1,0]
	global_store_b64 v[6:7], v[10:11], off
.LBB6_14:
	s_and_not1_b32 vcc_lo, exec_lo, s8
                                        ; implicit-def: $vgpr6_vgpr7
                                        ; implicit-def: $vgpr14
                                        ; implicit-def: $vgpr10_vgpr11
	s_cbranch_vccnz .LBB6_16
; %bb.15:
	s_wait_xcnt 0x0
	v_mul_u64_e32 v[6:7], s[6:7], v[8:9]
	v_dual_mov_b32 v3, 0 :: v_dual_lshlrev_b32 v2, 3, v2
	v_mov_b32_e32 v1, v4
                                        ; implicit-def: $vgpr14
                                        ; implicit-def: $vgpr10_vgpr11
	s_delay_alu instid0(VALU_DEP_3) | instskip(NEXT) | instid1(VALU_DEP_1)
	v_lshl_add_u64 v[6:7], v[6:7], 3, s[4:5]
	v_add_nc_u64_e32 v[2:3], v[6:7], v[2:3]
	s_delay_alu instid0(VALU_DEP_1) | instskip(SKIP_3) | instid1(VALU_DEP_1)
	v_lshl_add_u64 v[2:3], s[0:1], 3, v[2:3]
	global_load_b64 v[6:7], v[2:3], off
	s_wait_loadcnt 0x0
	v_pk_fma_f32 v[8:9], v[4:5], v[6:7], v[12:13] op_sel_hi:[1,0,1]
	v_pk_fma_f32 v[0:1], v[0:1], v[6:7], v[8:9] op_sel:[0,1,0]
                                        ; implicit-def: $vgpr8_vgpr9
                                        ; implicit-def: $vgpr6_vgpr7
	global_store_b64 v[2:3], v[0:1], off
                                        ; implicit-def: $vgpr2_vgpr3
.LBB6_16:
	s_wait_xcnt 0x0
	s_and_not1_saveexec_b32 s3, s3
	s_cbranch_execz .LBB6_21
; %bb.17:
	v_mov_b32_e32 v15, v6
	s_and_b32 vcc_lo, exec_lo, s2
	s_mov_b32 s2, -1
	s_delay_alu instid0(VALU_DEP_1) | instskip(NEXT) | instid1(VALU_DEP_1)
	v_pk_mul_f32 v[0:1], v[10:11], v[14:15] op_sel:[1,0]
	v_pk_fma_f32 v[0:1], v[6:7], v[10:11], v[0:1] op_sel_hi:[1,0,1]
	s_cbranch_vccz .LBB6_19
; %bb.18:
	v_mul_u64_e32 v[4:5], s[6:7], v[2:3]
	s_mov_b32 s2, 0
	s_delay_alu instid0(VALU_DEP_1) | instskip(NEXT) | instid1(VALU_DEP_1)
	v_lshl_add_u64 v[4:5], v[4:5], 3, s[4:5]
	v_lshl_add_u64 v[4:5], v[8:9], 3, v[4:5]
	s_delay_alu instid0(VALU_DEP_1)
	v_lshl_add_u64 v[4:5], s[0:1], 3, v[4:5]
	global_store_b64 v[4:5], v[0:1], off
.LBB6_19:
	s_and_not1_b32 vcc_lo, exec_lo, s2
	s_cbranch_vccnz .LBB6_21
; %bb.20:
	s_wait_xcnt 0x0
	v_mul_u64_e32 v[4:5], s[6:7], v[8:9]
	v_dual_mov_b32 v3, 0 :: v_dual_lshlrev_b32 v2, 3, v2
	s_delay_alu instid0(VALU_DEP_2) | instskip(NEXT) | instid1(VALU_DEP_1)
	v_lshl_add_u64 v[4:5], v[4:5], 3, s[4:5]
	v_add_nc_u64_e32 v[2:3], v[4:5], v[2:3]
	s_delay_alu instid0(VALU_DEP_1)
	v_lshl_add_u64 v[2:3], s[0:1], 3, v[2:3]
	global_store_b64 v[2:3], v[0:1], off
.LBB6_21:
	s_endpgm
	.section	.rodata,"a",@progbits
	.p2align	6, 0x0
	.amdhsa_kernel _ZN9rocsparse31csrmmnn_row_split_shared_kernelILj256ELj8E21rocsparse_complex_numIfEiiS2_S2_S2_EEvNS_24const_host_device_scalarIT1_EES5_bbbT3_S6_llPKT2_PKS6_PKT4_PKT5_llPT6_ll16rocsparse_order_21rocsparse_index_base_
		.amdhsa_group_segment_fixed_size 3072
		.amdhsa_private_segment_fixed_size 0
		.amdhsa_kernarg_size 128
		.amdhsa_user_sgpr_count 2
		.amdhsa_user_sgpr_dispatch_ptr 0
		.amdhsa_user_sgpr_queue_ptr 0
		.amdhsa_user_sgpr_kernarg_segment_ptr 1
		.amdhsa_user_sgpr_dispatch_id 0
		.amdhsa_user_sgpr_kernarg_preload_length 0
		.amdhsa_user_sgpr_kernarg_preload_offset 0
		.amdhsa_user_sgpr_private_segment_size 0
		.amdhsa_wavefront_size32 1
		.amdhsa_uses_dynamic_stack 0
		.amdhsa_enable_private_segment 0
		.amdhsa_system_sgpr_workgroup_id_x 1
		.amdhsa_system_sgpr_workgroup_id_y 1
		.amdhsa_system_sgpr_workgroup_id_z 1
		.amdhsa_system_sgpr_workgroup_info 0
		.amdhsa_system_vgpr_workitem_id 0
		.amdhsa_next_free_vgpr 46
		.amdhsa_next_free_sgpr 28
		.amdhsa_named_barrier_count 0
		.amdhsa_reserve_vcc 1
		.amdhsa_float_round_mode_32 0
		.amdhsa_float_round_mode_16_64 0
		.amdhsa_float_denorm_mode_32 3
		.amdhsa_float_denorm_mode_16_64 3
		.amdhsa_fp16_overflow 0
		.amdhsa_memory_ordered 1
		.amdhsa_forward_progress 1
		.amdhsa_inst_pref_size 15
		.amdhsa_round_robin_scheduling 0
		.amdhsa_exception_fp_ieee_invalid_op 0
		.amdhsa_exception_fp_denorm_src 0
		.amdhsa_exception_fp_ieee_div_zero 0
		.amdhsa_exception_fp_ieee_overflow 0
		.amdhsa_exception_fp_ieee_underflow 0
		.amdhsa_exception_fp_ieee_inexact 0
		.amdhsa_exception_int_div_zero 0
	.end_amdhsa_kernel
	.section	.text._ZN9rocsparse31csrmmnn_row_split_shared_kernelILj256ELj8E21rocsparse_complex_numIfEiiS2_S2_S2_EEvNS_24const_host_device_scalarIT1_EES5_bbbT3_S6_llPKT2_PKS6_PKT4_PKT5_llPT6_ll16rocsparse_order_21rocsparse_index_base_,"axG",@progbits,_ZN9rocsparse31csrmmnn_row_split_shared_kernelILj256ELj8E21rocsparse_complex_numIfEiiS2_S2_S2_EEvNS_24const_host_device_scalarIT1_EES5_bbbT3_S6_llPKT2_PKS6_PKT4_PKT5_llPT6_ll16rocsparse_order_21rocsparse_index_base_,comdat
.Lfunc_end6:
	.size	_ZN9rocsparse31csrmmnn_row_split_shared_kernelILj256ELj8E21rocsparse_complex_numIfEiiS2_S2_S2_EEvNS_24const_host_device_scalarIT1_EES5_bbbT3_S6_llPKT2_PKS6_PKT4_PKT5_llPT6_ll16rocsparse_order_21rocsparse_index_base_, .Lfunc_end6-_ZN9rocsparse31csrmmnn_row_split_shared_kernelILj256ELj8E21rocsparse_complex_numIfEiiS2_S2_S2_EEvNS_24const_host_device_scalarIT1_EES5_bbbT3_S6_llPKT2_PKS6_PKT4_PKT5_llPT6_ll16rocsparse_order_21rocsparse_index_base_
                                        ; -- End function
	.set _ZN9rocsparse31csrmmnn_row_split_shared_kernelILj256ELj8E21rocsparse_complex_numIfEiiS2_S2_S2_EEvNS_24const_host_device_scalarIT1_EES5_bbbT3_S6_llPKT2_PKS6_PKT4_PKT5_llPT6_ll16rocsparse_order_21rocsparse_index_base_.num_vgpr, 46
	.set _ZN9rocsparse31csrmmnn_row_split_shared_kernelILj256ELj8E21rocsparse_complex_numIfEiiS2_S2_S2_EEvNS_24const_host_device_scalarIT1_EES5_bbbT3_S6_llPKT2_PKS6_PKT4_PKT5_llPT6_ll16rocsparse_order_21rocsparse_index_base_.num_agpr, 0
	.set _ZN9rocsparse31csrmmnn_row_split_shared_kernelILj256ELj8E21rocsparse_complex_numIfEiiS2_S2_S2_EEvNS_24const_host_device_scalarIT1_EES5_bbbT3_S6_llPKT2_PKS6_PKT4_PKT5_llPT6_ll16rocsparse_order_21rocsparse_index_base_.numbered_sgpr, 28
	.set _ZN9rocsparse31csrmmnn_row_split_shared_kernelILj256ELj8E21rocsparse_complex_numIfEiiS2_S2_S2_EEvNS_24const_host_device_scalarIT1_EES5_bbbT3_S6_llPKT2_PKS6_PKT4_PKT5_llPT6_ll16rocsparse_order_21rocsparse_index_base_.num_named_barrier, 0
	.set _ZN9rocsparse31csrmmnn_row_split_shared_kernelILj256ELj8E21rocsparse_complex_numIfEiiS2_S2_S2_EEvNS_24const_host_device_scalarIT1_EES5_bbbT3_S6_llPKT2_PKS6_PKT4_PKT5_llPT6_ll16rocsparse_order_21rocsparse_index_base_.private_seg_size, 0
	.set _ZN9rocsparse31csrmmnn_row_split_shared_kernelILj256ELj8E21rocsparse_complex_numIfEiiS2_S2_S2_EEvNS_24const_host_device_scalarIT1_EES5_bbbT3_S6_llPKT2_PKS6_PKT4_PKT5_llPT6_ll16rocsparse_order_21rocsparse_index_base_.uses_vcc, 1
	.set _ZN9rocsparse31csrmmnn_row_split_shared_kernelILj256ELj8E21rocsparse_complex_numIfEiiS2_S2_S2_EEvNS_24const_host_device_scalarIT1_EES5_bbbT3_S6_llPKT2_PKS6_PKT4_PKT5_llPT6_ll16rocsparse_order_21rocsparse_index_base_.uses_flat_scratch, 1
	.set _ZN9rocsparse31csrmmnn_row_split_shared_kernelILj256ELj8E21rocsparse_complex_numIfEiiS2_S2_S2_EEvNS_24const_host_device_scalarIT1_EES5_bbbT3_S6_llPKT2_PKS6_PKT4_PKT5_llPT6_ll16rocsparse_order_21rocsparse_index_base_.has_dyn_sized_stack, 0
	.set _ZN9rocsparse31csrmmnn_row_split_shared_kernelILj256ELj8E21rocsparse_complex_numIfEiiS2_S2_S2_EEvNS_24const_host_device_scalarIT1_EES5_bbbT3_S6_llPKT2_PKS6_PKT4_PKT5_llPT6_ll16rocsparse_order_21rocsparse_index_base_.has_recursion, 0
	.set _ZN9rocsparse31csrmmnn_row_split_shared_kernelILj256ELj8E21rocsparse_complex_numIfEiiS2_S2_S2_EEvNS_24const_host_device_scalarIT1_EES5_bbbT3_S6_llPKT2_PKS6_PKT4_PKT5_llPT6_ll16rocsparse_order_21rocsparse_index_base_.has_indirect_call, 0
	.section	.AMDGPU.csdata,"",@progbits
; Kernel info:
; codeLenInByte = 1900
; TotalNumSgprs: 30
; NumVgprs: 46
; ScratchSize: 0
; MemoryBound: 0
; FloatMode: 240
; IeeeMode: 1
; LDSByteSize: 3072 bytes/workgroup (compile time only)
; SGPRBlocks: 0
; VGPRBlocks: 2
; NumSGPRsForWavesPerEU: 30
; NumVGPRsForWavesPerEU: 46
; NamedBarCnt: 0
; Occupancy: 16
; WaveLimiterHint : 1
; COMPUTE_PGM_RSRC2:SCRATCH_EN: 0
; COMPUTE_PGM_RSRC2:USER_SGPR: 2
; COMPUTE_PGM_RSRC2:TRAP_HANDLER: 0
; COMPUTE_PGM_RSRC2:TGID_X_EN: 1
; COMPUTE_PGM_RSRC2:TGID_Y_EN: 1
; COMPUTE_PGM_RSRC2:TGID_Z_EN: 1
; COMPUTE_PGM_RSRC2:TIDIG_COMP_CNT: 0
	.section	.text._ZN9rocsparse31csrmmnn_row_split_shared_kernelILj256ELj8E21rocsparse_complex_numIfEliS2_S2_S2_EEvNS_24const_host_device_scalarIT1_EES5_bbbT3_S6_llPKT2_PKS6_PKT4_PKT5_llPT6_ll16rocsparse_order_21rocsparse_index_base_,"axG",@progbits,_ZN9rocsparse31csrmmnn_row_split_shared_kernelILj256ELj8E21rocsparse_complex_numIfEliS2_S2_S2_EEvNS_24const_host_device_scalarIT1_EES5_bbbT3_S6_llPKT2_PKS6_PKT4_PKT5_llPT6_ll16rocsparse_order_21rocsparse_index_base_,comdat
	.protected	_ZN9rocsparse31csrmmnn_row_split_shared_kernelILj256ELj8E21rocsparse_complex_numIfEliS2_S2_S2_EEvNS_24const_host_device_scalarIT1_EES5_bbbT3_S6_llPKT2_PKS6_PKT4_PKT5_llPT6_ll16rocsparse_order_21rocsparse_index_base_ ; -- Begin function _ZN9rocsparse31csrmmnn_row_split_shared_kernelILj256ELj8E21rocsparse_complex_numIfEliS2_S2_S2_EEvNS_24const_host_device_scalarIT1_EES5_bbbT3_S6_llPKT2_PKS6_PKT4_PKT5_llPT6_ll16rocsparse_order_21rocsparse_index_base_
	.globl	_ZN9rocsparse31csrmmnn_row_split_shared_kernelILj256ELj8E21rocsparse_complex_numIfEliS2_S2_S2_EEvNS_24const_host_device_scalarIT1_EES5_bbbT3_S6_llPKT2_PKS6_PKT4_PKT5_llPT6_ll16rocsparse_order_21rocsparse_index_base_
	.p2align	8
	.type	_ZN9rocsparse31csrmmnn_row_split_shared_kernelILj256ELj8E21rocsparse_complex_numIfEliS2_S2_S2_EEvNS_24const_host_device_scalarIT1_EES5_bbbT3_S6_llPKT2_PKS6_PKT4_PKT5_llPT6_ll16rocsparse_order_21rocsparse_index_base_,@function
_ZN9rocsparse31csrmmnn_row_split_shared_kernelILj256ELj8E21rocsparse_complex_numIfEliS2_S2_S2_EEvNS_24const_host_device_scalarIT1_EES5_bbbT3_S6_llPKT2_PKS6_PKT4_PKT5_llPT6_ll16rocsparse_order_21rocsparse_index_base_: ; @_ZN9rocsparse31csrmmnn_row_split_shared_kernelILj256ELj8E21rocsparse_complex_numIfEliS2_S2_S2_EEvNS_24const_host_device_scalarIT1_EES5_bbbT3_S6_llPKT2_PKS6_PKT4_PKT5_llPT6_ll16rocsparse_order_21rocsparse_index_base_
; %bb.0:
	s_clause 0x1
	s_load_b32 s23, s[0:1], 0x10
	s_load_b128 s[4:7], s[0:1], 0x0
	s_or_b64 s[2:3], s[0:1], 8
	v_mov_b32_e32 v1, 0
	s_wait_kmcnt 0x0
	s_bitcmp1_b32 s23, 0
	s_cselect_b32 s5, s1, s5
	s_cselect_b32 s4, s0, s4
	;; [unrolled: 1-line block ×4, first 2 shown]
	s_clause 0x1
	flat_load_b64 v[10:11], v1, s[4:5]
	flat_load_b64 v[8:9], v1, s[2:3]
	s_wait_loadcnt_dscnt 0x101
	s_wait_xcnt 0x0
	v_cmp_eq_f32_e64 s2, 0, v10
	v_cmp_eq_f32_e64 s3, 0, v11
	s_wait_loadcnt_dscnt 0x0
	v_cmp_eq_f32_e64 s4, 1.0, v8
	v_cmp_eq_f32_e32 vcc_lo, 0, v9
	s_and_b32 s2, s2, s3
	s_and_b32 s3, s4, vcc_lo
	s_delay_alu instid0(SALU_CYCLE_1) | instskip(NEXT) | instid1(SALU_CYCLE_1)
	s_and_b32 s2, s2, s3
	s_xor_b32 s2, s2, -1
	s_delay_alu instid0(SALU_CYCLE_1)
	s_and_saveexec_b32 s3, s2
	s_cbranch_execz .LBB7_21
; %bb.1:
	s_bfe_u32 s2, ttmp6, 0x4000c
	s_load_b96 s[20:22], s[0:1], 0x10
	s_add_co_i32 s2, s2, 1
	s_and_b32 s4, ttmp6, 15
	s_mul_i32 s2, ttmp9, s2
	s_getreg_b32 s3, hwreg(HW_REG_IB_STS2, 6, 4)
	s_add_co_i32 s4, s4, s2
	s_cmp_eq_u32 s3, 0
	s_cselect_b32 s2, ttmp9, s4
	s_delay_alu instid0(SALU_CYCLE_1) | instskip(NEXT) | instid1(VALU_DEP_1)
	v_lshl_or_b32 v1, s2, 8, v0
	v_lshrrev_b32_e32 v6, 3, v1
	s_wait_kmcnt 0x0
	s_delay_alu instid0(VALU_DEP_1)
	v_cmp_gt_i32_e64 s2, s21, v6
	s_and_b32 exec_lo, exec_lo, s2
	s_cbranch_execz .LBB7_21
; %bb.2:
	s_load_b512 s[4:19], s[0:1], 0x20
	s_bfe_u32 s2, ttmp6, 0x40014
	s_bfe_u32 s24, ttmp6, 0x40010
	s_lshr_b32 s21, ttmp7, 16
	s_add_co_i32 s2, s2, 1
	s_and_b32 s26, ttmp7, 0xffff
	s_add_co_i32 s24, s24, 1
	s_mul_i32 s2, s21, s2
	s_bfe_u32 s25, ttmp6, 0x40008
	s_mul_i32 s24, s26, s24
	s_bfe_u32 s27, ttmp6, 0x40004
	s_add_co_i32 s2, s25, s2
	s_add_co_i32 s27, s27, s24
	s_cmp_eq_u32 s3, 0
	s_mov_b32 s25, 0
	s_cselect_b32 s24, s21, s2
	v_dual_lshlrev_b32 v1, 3, v6 :: v_dual_bitop2_b32 v14, 7, v0 bitop3:0x40
	s_cselect_b32 s21, s26, s27
	s_wait_kmcnt 0x0
	s_mul_u64 s[2:3], s[4:5], s[24:25]
	s_mov_b32 s5, exec_lo
	s_lshl_b64 s[2:3], s[2:3], 3
	v_lshl_or_b32 v12, s21, 3, v14
	s_add_nc_u64 s[2:3], s[8:9], s[2:3]
	s_load_b64 s[8:9], s[0:1], 0x78
	global_load_b128 v[2:5], v1, s[2:3]
	v_dual_mov_b32 v7, 0 :: v_dual_ashrrev_i32 v13, 31, v12
	s_delay_alu instid0(VALU_DEP_1)
	v_dual_mov_b32 v17, v7 :: v_dual_mov_b32 v16, v7
	s_wait_loadcnt 0x0
	v_cmpx_lt_i64_e64 v[2:3], v[4:5]
	s_cbranch_execz .LBB7_10
; %bb.3:
	v_mad_nc_u64_u32 v[16:17], s6, s24, v[2:3]
	v_mul_u64_e32 v[18:19], s[16:17], v[12:13]
	v_dual_mov_b32 v15, 0 :: v_dual_lshrrev_b32 v20, 3, v0
	s_wait_kmcnt 0x0
	s_mov_b32 s6, s9
	s_bitcmp1_b32 s23, 8
	v_cmp_gt_i32_e64 s3, s22, v12
	s_cselect_b32 s2, -1, 0
	v_lshl_or_b32 v24, v20, 5, 0x800
	v_lshlrev_b32_e32 v25, 6, v20
	s_bitcmp1_b32 s20, 16
	v_mad_u32 v17, s7, s24, v17
	s_mov_b32 s7, s25
	v_lshl_or_b32 v26, v14, 2, v24
	v_sub_nc_u64_e64 v[0:1], v[4:5], s[6:7]
	v_sub_nc_u64_e64 v[2:3], v[2:3], s[6:7]
	s_delay_alu instid0(VALU_DEP_4) | instskip(NEXT) | instid1(VALU_DEP_1)
	v_add_nc_u64_e32 v[16:17], v[16:17], v[14:15]
	v_sub_nc_u64_e64 v[16:17], v[16:17], s[6:7]
	s_mul_u64 s[6:7], s[18:19], s[24:25]
	v_lshl_add_u64 v[4:5], v[18:19], 3, s[14:15]
	s_delay_alu instid0(VALU_DEP_2) | instskip(SKIP_1) | instid1(VALU_DEP_3)
	v_lshl_add_u64 v[20:21], v[16:17], 3, s[12:13]
	v_lshl_add_u64 v[18:19], v[16:17], 2, s[10:11]
	;; [unrolled: 1-line block ×3, first 2 shown]
	v_mov_b32_e32 v16, v15
	v_lshl_or_b32 v27, v14, 3, v25
	v_add_nc_u64_e32 v[20:21], 4, v[20:21]
	v_mov_b32_e32 v17, v15
	s_cselect_b32 s7, -1, 0
	s_mov_b32 s6, s25
	s_branch .LBB7_5
.LBB7_4:                                ;   in Loop: Header=BB7_5 Depth=1
	s_or_b32 exec_lo, exec_lo, s4
	v_add_nc_u64_e32 v[2:3], 8, v[2:3]
	v_add_nc_u64_e32 v[18:19], 32, v[18:19]
	v_add_nc_u64_e32 v[20:21], 64, v[20:21]
	s_delay_alu instid0(VALU_DEP_3) | instskip(SKIP_1) | instid1(SALU_CYCLE_1)
	v_cmp_ge_i64_e64 s4, v[2:3], v[0:1]
	s_or_b32 s6, s4, s6
	s_and_not1_b32 exec_lo, exec_lo, s6
	s_cbranch_execz .LBB7_9
.LBB7_5:                                ; =>This Inner Loop Header: Depth=1
	v_add_nc_u64_e32 v[22:23], v[14:15], v[2:3]
	v_mov_b32_e32 v28, 0
	s_barrier_signal -1
	s_barrier_wait -1
	s_delay_alu instid0(VALU_DEP_2)
	v_cmp_lt_i64_e64 s4, v[22:23], v[0:1]
	v_dual_mov_b32 v22, 0 :: v_dual_mov_b32 v23, 0
	s_and_saveexec_b32 s10, s4
	s_cbranch_execz .LBB7_7
; %bb.6:                                ;   in Loop: Header=BB7_5 Depth=1
	global_load_b64 v[22:23], v[20:21], off offset:-4
	global_load_b32 v28, v[18:19], off
	s_wait_loadcnt 0x1
	v_xor_b32_e32 v29, 0x80000000, v23
	s_wait_loadcnt 0x0
	v_subrev_nc_u32_e32 v28, s9, v28
	s_delay_alu instid0(VALU_DEP_2)
	v_cndmask_b32_e64 v23, v23, v29, s2
.LBB7_7:                                ;   in Loop: Header=BB7_5 Depth=1
	s_or_b32 exec_lo, exec_lo, s10
	ds_store_b32 v26, v28
	ds_store_b64 v27, v[22:23]
	s_wait_dscnt 0x0
	s_barrier_signal -1
	s_barrier_wait -1
	s_and_saveexec_b32 s4, s3
	s_cbranch_execz .LBB7_4
; %bb.8:                                ;   in Loop: Header=BB7_5 Depth=1
	ds_load_b128 v[28:31], v24
	ds_load_b128 v[32:35], v24 offset:16
	s_wait_dscnt 0x1
	v_dual_mov_b32 v22, v28 :: v_dual_ashrrev_i32 v23, 31, v28
	v_dual_mov_b32 v36, v29 :: v_dual_ashrrev_i32 v37, 31, v29
	s_delay_alu instid0(VALU_DEP_2) | instskip(NEXT) | instid1(VALU_DEP_2)
	v_lshl_add_u64 v[22:23], v[22:23], 3, v[4:5]
	v_lshl_add_u64 v[28:29], v[36:37], 3, v[4:5]
	v_dual_mov_b32 v36, v30 :: v_dual_ashrrev_i32 v37, 31, v30
	global_load_b64 v[22:23], v[22:23], off
	s_wait_dscnt 0x0
	v_mov_b32_e32 v30, v32
	global_load_b64 v[38:39], v[28:29], off
	s_wait_xcnt 0x0
	v_lshl_add_u64 v[28:29], v[36:37], 3, v[4:5]
	v_dual_mov_b32 v36, v31 :: v_dual_ashrrev_i32 v37, 31, v31
	v_ashrrev_i32_e32 v31, 31, v32
	global_load_b64 v[40:41], v[28:29], off
	s_wait_xcnt 0x0
	v_lshl_add_u64 v[28:29], v[36:37], 3, v[4:5]
	global_load_b64 v[36:37], v[28:29], off
	s_wait_xcnt 0x0
	v_lshl_add_u64 v[28:29], v[30:31], 3, v[4:5]
	v_dual_mov_b32 v30, v33 :: v_dual_ashrrev_i32 v31, 31, v33
	global_load_b64 v[42:43], v[28:29], off
	s_wait_xcnt 0x0
	v_lshl_add_u64 v[28:29], v[30:31], 3, v[4:5]
	v_dual_mov_b32 v30, v34 :: v_dual_ashrrev_i32 v31, 31, v34
	;; [unrolled: 4-line block ×3, first 2 shown]
	global_load_b64 v[46:47], v[28:29], off
	s_wait_xcnt 0x0
	v_lshl_add_u64 v[28:29], v[30:31], 3, v[4:5]
	global_load_b64 v[48:49], v[28:29], off
	s_wait_xcnt 0x0
	ds_load_b128 v[28:31], v25
	ds_load_b128 v[32:35], v25 offset:16
	s_wait_loadcnt 0x7
	v_cndmask_b32_e64 v50, v23, -v23, s7
	s_wait_dscnt 0x1
	v_pk_fma_f32 v[16:17], v[28:29], v[22:23], v[16:17] op_sel_hi:[1,0,1]
	v_mov_b32_e32 v23, v30
	v_xor_b32_e32 v22, 0x80000000, v31
	s_delay_alu instid0(VALU_DEP_3) | instskip(SKIP_2) | instid1(VALU_DEP_2)
	v_pk_fma_f32 v[16:17], v[28:29], v[50:51], v[16:17] op_sel:[1,0,0] op_sel_hi:[0,0,1] neg_lo:[1,0,0]
	s_wait_loadcnt 0x6
	v_cndmask_b32_e64 v28, v39, -v39, s7
	v_pk_fma_f32 v[16:17], v[30:31], v[38:39], v[16:17] op_sel_hi:[1,0,1]
	s_delay_alu instid0(VALU_DEP_1)
	v_pk_fma_f32 v[16:17], v[22:23], v[28:29], v[16:17] op_sel_hi:[1,0,1]
	ds_load_b128 v[28:31], v25 offset:32
	s_wait_loadcnt 0x5
	v_cndmask_b32_e64 v22, v41, -v41, s7
	s_wait_dscnt 0x1
	v_pk_fma_f32 v[16:17], v[32:33], v[40:41], v[16:17] op_sel_hi:[1,0,1]
	s_delay_alu instid0(VALU_DEP_1) | instskip(SKIP_3) | instid1(VALU_DEP_3)
	v_pk_fma_f32 v[16:17], v[32:33], v[22:23], v[16:17] op_sel:[1,0,0] op_sel_hi:[0,0,1] neg_lo:[1,0,0]
	v_xor_b32_e32 v22, 0x80000000, v35
	s_wait_loadcnt 0x4
	v_dual_mov_b32 v23, v34 :: v_dual_cndmask_b32 v32, v37, -v37, s7
	v_pk_fma_f32 v[16:17], v[34:35], v[36:37], v[16:17] op_sel_hi:[1,0,1]
	s_delay_alu instid0(VALU_DEP_1)
	v_pk_fma_f32 v[16:17], v[22:23], v[32:33], v[16:17] op_sel_hi:[1,0,1]
	ds_load_b128 v[32:35], v25 offset:48
	s_wait_loadcnt 0x3
	v_cndmask_b32_e64 v22, v43, -v43, s7
	s_wait_dscnt 0x1
	v_pk_fma_f32 v[16:17], v[28:29], v[42:43], v[16:17] op_sel_hi:[1,0,1]
	s_delay_alu instid0(VALU_DEP_1) | instskip(SKIP_3) | instid1(VALU_DEP_3)
	v_pk_fma_f32 v[16:17], v[28:29], v[22:23], v[16:17] op_sel:[1,0,0] op_sel_hi:[0,0,1] neg_lo:[1,0,0]
	v_xor_b32_e32 v22, 0x80000000, v31
	s_wait_loadcnt 0x2
	v_dual_mov_b32 v23, v30 :: v_dual_cndmask_b32 v28, v45, -v45, s7
	v_pk_fma_f32 v[16:17], v[30:31], v[44:45], v[16:17] op_sel_hi:[1,0,1]
	s_delay_alu instid0(VALU_DEP_1) | instskip(SKIP_3) | instid1(VALU_DEP_2)
	v_pk_fma_f32 v[16:17], v[22:23], v[28:29], v[16:17] op_sel_hi:[1,0,1]
	s_wait_loadcnt 0x0
	v_dual_cndmask_b32 v22, v47, -v47, s7 :: v_dual_cndmask_b32 v28, v49, -v49, s7
	s_wait_dscnt 0x0
	v_pk_fma_f32 v[16:17], v[32:33], v[46:47], v[16:17] op_sel_hi:[1,0,1]
	s_delay_alu instid0(VALU_DEP_1) | instskip(SKIP_2) | instid1(VALU_DEP_3)
	v_pk_fma_f32 v[16:17], v[32:33], v[22:23], v[16:17] op_sel:[1,0,0] op_sel_hi:[0,0,1] neg_lo:[1,0,0]
	v_xor_b32_e32 v22, 0x80000000, v35
	v_mov_b32_e32 v23, v34
	v_pk_fma_f32 v[16:17], v[34:35], v[48:49], v[16:17] op_sel_hi:[1,0,1]
	s_delay_alu instid0(VALU_DEP_1)
	v_pk_fma_f32 v[16:17], v[22:23], v[28:29], v[16:17] op_sel_hi:[1,0,1]
	s_branch .LBB7_4
.LBB7_9:
	s_or_b32 exec_lo, exec_lo, s6
.LBB7_10:
	s_delay_alu instid0(SALU_CYCLE_1)
	s_or_b32 exec_lo, exec_lo, s5
	v_cmp_gt_i32_e64 s2, s22, v12
	s_and_b32 exec_lo, exec_lo, s2
	s_cbranch_execz .LBB7_21
; %bb.11:
	s_clause 0x1
	s_load_b64 s[10:11], s[0:1], 0x70
	s_load_b128 s[4:7], s[0:1], 0x60
	s_wait_xcnt 0x0
	v_cmp_neq_f32_e64 s0, 0, v8
	s_xor_b32 s1, vcc_lo, -1
	v_xor_b32_e32 v4, 0x80000000, v11
	s_or_b32 s3, s0, s1
	s_wait_kmcnt 0x0
	s_cmp_lg_u32 s8, 1
	s_mov_b32 s8, -1
	s_cselect_b32 s2, -1, 0
	s_mul_u64 s[0:1], s[10:11], s[24:25]
	s_and_saveexec_b32 s9, s3
	s_delay_alu instid0(SALU_CYCLE_1)
	s_xor_b32 s3, exec_lo, s9
	s_cbranch_execz .LBB7_16
; %bb.12:
	v_mov_b32_e32 v5, v10
	s_and_b32 vcc_lo, exec_lo, s2
	s_delay_alu instid0(VALU_DEP_1) | instskip(NEXT) | instid1(VALU_DEP_1)
	v_pk_mul_f32 v[0:1], v[16:17], v[4:5] op_sel:[1,0]
	v_pk_fma_f32 v[2:3], v[10:11], v[16:17], v[0:1] op_sel_hi:[1,0,1]
	v_xor_b32_e32 v0, 0x80000000, v9
	s_cbranch_vccz .LBB7_14
; %bb.13:
	v_mul_u64_e32 v[4:5], s[6:7], v[6:7]
	v_mov_b32_e32 v1, v8
	s_mov_b32 s8, 0
	s_delay_alu instid0(VALU_DEP_2) | instskip(NEXT) | instid1(VALU_DEP_1)
	v_lshl_add_u64 v[4:5], v[4:5], 3, s[4:5]
	v_lshl_add_u64 v[4:5], v[12:13], 3, v[4:5]
	s_delay_alu instid0(VALU_DEP_1) | instskip(SKIP_3) | instid1(VALU_DEP_1)
	v_lshl_add_u64 v[4:5], s[0:1], 3, v[4:5]
	global_load_b64 v[10:11], v[4:5], off
	s_wait_loadcnt 0x0
	v_pk_fma_f32 v[14:15], v[8:9], v[10:11], v[2:3] op_sel_hi:[1,0,1]
	v_pk_fma_f32 v[10:11], v[0:1], v[10:11], v[14:15] op_sel:[0,1,0]
	global_store_b64 v[4:5], v[10:11], off
.LBB7_14:
	s_and_not1_b32 vcc_lo, exec_lo, s8
                                        ; implicit-def: $vgpr10_vgpr11
                                        ; implicit-def: $vgpr4
                                        ; implicit-def: $vgpr16_vgpr17
	s_cbranch_vccnz .LBB7_16
; %bb.15:
	s_wait_xcnt 0x0
	v_mul_u64_e32 v[4:5], s[6:7], v[12:13]
	v_dual_mov_b32 v7, 0 :: v_dual_lshlrev_b32 v6, 3, v6
	v_mov_b32_e32 v1, v8
                                        ; implicit-def: $vgpr12_vgpr13
                                        ; implicit-def: $vgpr10_vgpr11
                                        ; implicit-def: $vgpr16_vgpr17
	s_delay_alu instid0(VALU_DEP_3) | instskip(NEXT) | instid1(VALU_DEP_1)
	v_lshl_add_u64 v[4:5], v[4:5], 3, s[4:5]
	v_add_nc_u64_e32 v[4:5], v[4:5], v[6:7]
	s_delay_alu instid0(VALU_DEP_1) | instskip(SKIP_3) | instid1(VALU_DEP_1)
	v_lshl_add_u64 v[4:5], s[0:1], 3, v[4:5]
	global_load_b64 v[6:7], v[4:5], off
	s_wait_loadcnt 0x0
	v_pk_fma_f32 v[2:3], v[8:9], v[6:7], v[2:3] op_sel_hi:[1,0,1]
	v_pk_fma_f32 v[0:1], v[0:1], v[6:7], v[2:3] op_sel:[0,1,0]
                                        ; implicit-def: $vgpr6_vgpr7
	global_store_b64 v[4:5], v[0:1], off
                                        ; implicit-def: $vgpr4
.LBB7_16:
	s_wait_xcnt 0x0
	s_and_not1_saveexec_b32 s3, s3
	s_cbranch_execz .LBB7_21
; %bb.17:
	v_mov_b32_e32 v5, v10
	s_and_b32 vcc_lo, exec_lo, s2
	s_mov_b32 s2, -1
	s_delay_alu instid0(VALU_DEP_1) | instskip(NEXT) | instid1(VALU_DEP_1)
	v_pk_mul_f32 v[0:1], v[16:17], v[4:5] op_sel:[1,0]
	v_pk_fma_f32 v[0:1], v[10:11], v[16:17], v[0:1] op_sel_hi:[1,0,1]
	s_cbranch_vccz .LBB7_19
; %bb.18:
	v_mul_u64_e32 v[2:3], s[6:7], v[6:7]
	s_mov_b32 s2, 0
	s_delay_alu instid0(VALU_DEP_1) | instskip(NEXT) | instid1(VALU_DEP_1)
	v_lshl_add_u64 v[2:3], v[2:3], 3, s[4:5]
	v_lshl_add_u64 v[2:3], v[12:13], 3, v[2:3]
	s_delay_alu instid0(VALU_DEP_1)
	v_lshl_add_u64 v[2:3], s[0:1], 3, v[2:3]
	global_store_b64 v[2:3], v[0:1], off
.LBB7_19:
	s_and_not1_b32 vcc_lo, exec_lo, s2
	s_cbranch_vccnz .LBB7_21
; %bb.20:
	s_wait_xcnt 0x0
	v_mul_u64_e32 v[2:3], s[6:7], v[12:13]
	v_dual_mov_b32 v5, 0 :: v_dual_lshlrev_b32 v4, 3, v6
	s_delay_alu instid0(VALU_DEP_2) | instskip(NEXT) | instid1(VALU_DEP_1)
	v_lshl_add_u64 v[2:3], v[2:3], 3, s[4:5]
	v_add_nc_u64_e32 v[2:3], v[2:3], v[4:5]
	s_delay_alu instid0(VALU_DEP_1)
	v_lshl_add_u64 v[2:3], s[0:1], 3, v[2:3]
	global_store_b64 v[2:3], v[0:1], off
.LBB7_21:
	s_endpgm
	.section	.rodata,"a",@progbits
	.p2align	6, 0x0
	.amdhsa_kernel _ZN9rocsparse31csrmmnn_row_split_shared_kernelILj256ELj8E21rocsparse_complex_numIfEliS2_S2_S2_EEvNS_24const_host_device_scalarIT1_EES5_bbbT3_S6_llPKT2_PKS6_PKT4_PKT5_llPT6_ll16rocsparse_order_21rocsparse_index_base_
		.amdhsa_group_segment_fixed_size 3072
		.amdhsa_private_segment_fixed_size 0
		.amdhsa_kernarg_size 128
		.amdhsa_user_sgpr_count 2
		.amdhsa_user_sgpr_dispatch_ptr 0
		.amdhsa_user_sgpr_queue_ptr 0
		.amdhsa_user_sgpr_kernarg_segment_ptr 1
		.amdhsa_user_sgpr_dispatch_id 0
		.amdhsa_user_sgpr_kernarg_preload_length 0
		.amdhsa_user_sgpr_kernarg_preload_offset 0
		.amdhsa_user_sgpr_private_segment_size 0
		.amdhsa_wavefront_size32 1
		.amdhsa_uses_dynamic_stack 0
		.amdhsa_enable_private_segment 0
		.amdhsa_system_sgpr_workgroup_id_x 1
		.amdhsa_system_sgpr_workgroup_id_y 1
		.amdhsa_system_sgpr_workgroup_id_z 1
		.amdhsa_system_sgpr_workgroup_info 0
		.amdhsa_system_vgpr_workitem_id 0
		.amdhsa_next_free_vgpr 52
		.amdhsa_next_free_sgpr 28
		.amdhsa_named_barrier_count 0
		.amdhsa_reserve_vcc 1
		.amdhsa_float_round_mode_32 0
		.amdhsa_float_round_mode_16_64 0
		.amdhsa_float_denorm_mode_32 3
		.amdhsa_float_denorm_mode_16_64 3
		.amdhsa_fp16_overflow 0
		.amdhsa_memory_ordered 1
		.amdhsa_forward_progress 1
		.amdhsa_inst_pref_size 16
		.amdhsa_round_robin_scheduling 0
		.amdhsa_exception_fp_ieee_invalid_op 0
		.amdhsa_exception_fp_denorm_src 0
		.amdhsa_exception_fp_ieee_div_zero 0
		.amdhsa_exception_fp_ieee_overflow 0
		.amdhsa_exception_fp_ieee_underflow 0
		.amdhsa_exception_fp_ieee_inexact 0
		.amdhsa_exception_int_div_zero 0
	.end_amdhsa_kernel
	.section	.text._ZN9rocsparse31csrmmnn_row_split_shared_kernelILj256ELj8E21rocsparse_complex_numIfEliS2_S2_S2_EEvNS_24const_host_device_scalarIT1_EES5_bbbT3_S6_llPKT2_PKS6_PKT4_PKT5_llPT6_ll16rocsparse_order_21rocsparse_index_base_,"axG",@progbits,_ZN9rocsparse31csrmmnn_row_split_shared_kernelILj256ELj8E21rocsparse_complex_numIfEliS2_S2_S2_EEvNS_24const_host_device_scalarIT1_EES5_bbbT3_S6_llPKT2_PKS6_PKT4_PKT5_llPT6_ll16rocsparse_order_21rocsparse_index_base_,comdat
.Lfunc_end7:
	.size	_ZN9rocsparse31csrmmnn_row_split_shared_kernelILj256ELj8E21rocsparse_complex_numIfEliS2_S2_S2_EEvNS_24const_host_device_scalarIT1_EES5_bbbT3_S6_llPKT2_PKS6_PKT4_PKT5_llPT6_ll16rocsparse_order_21rocsparse_index_base_, .Lfunc_end7-_ZN9rocsparse31csrmmnn_row_split_shared_kernelILj256ELj8E21rocsparse_complex_numIfEliS2_S2_S2_EEvNS_24const_host_device_scalarIT1_EES5_bbbT3_S6_llPKT2_PKS6_PKT4_PKT5_llPT6_ll16rocsparse_order_21rocsparse_index_base_
                                        ; -- End function
	.set _ZN9rocsparse31csrmmnn_row_split_shared_kernelILj256ELj8E21rocsparse_complex_numIfEliS2_S2_S2_EEvNS_24const_host_device_scalarIT1_EES5_bbbT3_S6_llPKT2_PKS6_PKT4_PKT5_llPT6_ll16rocsparse_order_21rocsparse_index_base_.num_vgpr, 52
	.set _ZN9rocsparse31csrmmnn_row_split_shared_kernelILj256ELj8E21rocsparse_complex_numIfEliS2_S2_S2_EEvNS_24const_host_device_scalarIT1_EES5_bbbT3_S6_llPKT2_PKS6_PKT4_PKT5_llPT6_ll16rocsparse_order_21rocsparse_index_base_.num_agpr, 0
	.set _ZN9rocsparse31csrmmnn_row_split_shared_kernelILj256ELj8E21rocsparse_complex_numIfEliS2_S2_S2_EEvNS_24const_host_device_scalarIT1_EES5_bbbT3_S6_llPKT2_PKS6_PKT4_PKT5_llPT6_ll16rocsparse_order_21rocsparse_index_base_.numbered_sgpr, 28
	.set _ZN9rocsparse31csrmmnn_row_split_shared_kernelILj256ELj8E21rocsparse_complex_numIfEliS2_S2_S2_EEvNS_24const_host_device_scalarIT1_EES5_bbbT3_S6_llPKT2_PKS6_PKT4_PKT5_llPT6_ll16rocsparse_order_21rocsparse_index_base_.num_named_barrier, 0
	.set _ZN9rocsparse31csrmmnn_row_split_shared_kernelILj256ELj8E21rocsparse_complex_numIfEliS2_S2_S2_EEvNS_24const_host_device_scalarIT1_EES5_bbbT3_S6_llPKT2_PKS6_PKT4_PKT5_llPT6_ll16rocsparse_order_21rocsparse_index_base_.private_seg_size, 0
	.set _ZN9rocsparse31csrmmnn_row_split_shared_kernelILj256ELj8E21rocsparse_complex_numIfEliS2_S2_S2_EEvNS_24const_host_device_scalarIT1_EES5_bbbT3_S6_llPKT2_PKS6_PKT4_PKT5_llPT6_ll16rocsparse_order_21rocsparse_index_base_.uses_vcc, 1
	.set _ZN9rocsparse31csrmmnn_row_split_shared_kernelILj256ELj8E21rocsparse_complex_numIfEliS2_S2_S2_EEvNS_24const_host_device_scalarIT1_EES5_bbbT3_S6_llPKT2_PKS6_PKT4_PKT5_llPT6_ll16rocsparse_order_21rocsparse_index_base_.uses_flat_scratch, 1
	.set _ZN9rocsparse31csrmmnn_row_split_shared_kernelILj256ELj8E21rocsparse_complex_numIfEliS2_S2_S2_EEvNS_24const_host_device_scalarIT1_EES5_bbbT3_S6_llPKT2_PKS6_PKT4_PKT5_llPT6_ll16rocsparse_order_21rocsparse_index_base_.has_dyn_sized_stack, 0
	.set _ZN9rocsparse31csrmmnn_row_split_shared_kernelILj256ELj8E21rocsparse_complex_numIfEliS2_S2_S2_EEvNS_24const_host_device_scalarIT1_EES5_bbbT3_S6_llPKT2_PKS6_PKT4_PKT5_llPT6_ll16rocsparse_order_21rocsparse_index_base_.has_recursion, 0
	.set _ZN9rocsparse31csrmmnn_row_split_shared_kernelILj256ELj8E21rocsparse_complex_numIfEliS2_S2_S2_EEvNS_24const_host_device_scalarIT1_EES5_bbbT3_S6_llPKT2_PKS6_PKT4_PKT5_llPT6_ll16rocsparse_order_21rocsparse_index_base_.has_indirect_call, 0
	.section	.AMDGPU.csdata,"",@progbits
; Kernel info:
; codeLenInByte = 1932
; TotalNumSgprs: 30
; NumVgprs: 52
; ScratchSize: 0
; MemoryBound: 0
; FloatMode: 240
; IeeeMode: 1
; LDSByteSize: 3072 bytes/workgroup (compile time only)
; SGPRBlocks: 0
; VGPRBlocks: 3
; NumSGPRsForWavesPerEU: 30
; NumVGPRsForWavesPerEU: 52
; NamedBarCnt: 0
; Occupancy: 16
; WaveLimiterHint : 1
; COMPUTE_PGM_RSRC2:SCRATCH_EN: 0
; COMPUTE_PGM_RSRC2:USER_SGPR: 2
; COMPUTE_PGM_RSRC2:TRAP_HANDLER: 0
; COMPUTE_PGM_RSRC2:TGID_X_EN: 1
; COMPUTE_PGM_RSRC2:TGID_Y_EN: 1
; COMPUTE_PGM_RSRC2:TGID_Z_EN: 1
; COMPUTE_PGM_RSRC2:TIDIG_COMP_CNT: 0
	.section	.text._ZN9rocsparse31csrmmnn_row_split_shared_kernelILj256ELj8E21rocsparse_complex_numIfEllS2_S2_S2_EEvNS_24const_host_device_scalarIT1_EES5_bbbT3_S6_llPKT2_PKS6_PKT4_PKT5_llPT6_ll16rocsparse_order_21rocsparse_index_base_,"axG",@progbits,_ZN9rocsparse31csrmmnn_row_split_shared_kernelILj256ELj8E21rocsparse_complex_numIfEllS2_S2_S2_EEvNS_24const_host_device_scalarIT1_EES5_bbbT3_S6_llPKT2_PKS6_PKT4_PKT5_llPT6_ll16rocsparse_order_21rocsparse_index_base_,comdat
	.protected	_ZN9rocsparse31csrmmnn_row_split_shared_kernelILj256ELj8E21rocsparse_complex_numIfEllS2_S2_S2_EEvNS_24const_host_device_scalarIT1_EES5_bbbT3_S6_llPKT2_PKS6_PKT4_PKT5_llPT6_ll16rocsparse_order_21rocsparse_index_base_ ; -- Begin function _ZN9rocsparse31csrmmnn_row_split_shared_kernelILj256ELj8E21rocsparse_complex_numIfEllS2_S2_S2_EEvNS_24const_host_device_scalarIT1_EES5_bbbT3_S6_llPKT2_PKS6_PKT4_PKT5_llPT6_ll16rocsparse_order_21rocsparse_index_base_
	.globl	_ZN9rocsparse31csrmmnn_row_split_shared_kernelILj256ELj8E21rocsparse_complex_numIfEllS2_S2_S2_EEvNS_24const_host_device_scalarIT1_EES5_bbbT3_S6_llPKT2_PKS6_PKT4_PKT5_llPT6_ll16rocsparse_order_21rocsparse_index_base_
	.p2align	8
	.type	_ZN9rocsparse31csrmmnn_row_split_shared_kernelILj256ELj8E21rocsparse_complex_numIfEllS2_S2_S2_EEvNS_24const_host_device_scalarIT1_EES5_bbbT3_S6_llPKT2_PKS6_PKT4_PKT5_llPT6_ll16rocsparse_order_21rocsparse_index_base_,@function
_ZN9rocsparse31csrmmnn_row_split_shared_kernelILj256ELj8E21rocsparse_complex_numIfEllS2_S2_S2_EEvNS_24const_host_device_scalarIT1_EES5_bbbT3_S6_llPKT2_PKS6_PKT4_PKT5_llPT6_ll16rocsparse_order_21rocsparse_index_base_: ; @_ZN9rocsparse31csrmmnn_row_split_shared_kernelILj256ELj8E21rocsparse_complex_numIfEllS2_S2_S2_EEvNS_24const_host_device_scalarIT1_EES5_bbbT3_S6_llPKT2_PKS6_PKT4_PKT5_llPT6_ll16rocsparse_order_21rocsparse_index_base_
; %bb.0:
	s_clause 0x1
	s_load_b32 s33, s[0:1], 0x10
	s_load_b128 s[4:7], s[0:1], 0x0
	s_or_b64 s[2:3], s[0:1], 8
	v_mov_b32_e32 v9, 0
	s_wait_kmcnt 0x0
	s_bitcmp1_b32 s33, 0
	s_cselect_b32 s5, s1, s5
	s_cselect_b32 s4, s0, s4
	;; [unrolled: 1-line block ×4, first 2 shown]
	s_clause 0x1
	flat_load_b64 v[10:11], v9, s[4:5]
	flat_load_b64 v[6:7], v9, s[2:3]
	s_wait_loadcnt_dscnt 0x101
	s_wait_xcnt 0x0
	v_cmp_eq_f32_e64 s2, 0, v10
	v_cmp_eq_f32_e64 s3, 0, v11
	s_wait_loadcnt_dscnt 0x0
	v_cmp_eq_f32_e64 s4, 1.0, v6
	v_cmp_eq_f32_e32 vcc_lo, 0, v7
	s_and_b32 s2, s2, s3
	s_and_b32 s3, s4, vcc_lo
	s_delay_alu instid0(SALU_CYCLE_1) | instskip(NEXT) | instid1(SALU_CYCLE_1)
	s_and_b32 s2, s2, s3
	s_xor_b32 s2, s2, -1
	s_delay_alu instid0(SALU_CYCLE_1)
	s_and_saveexec_b32 s3, s2
	s_cbranch_execz .LBB8_21
; %bb.1:
	s_bfe_u32 s2, ttmp6, 0x4000c
	s_load_b512 s[4:19], s[0:1], 0x18
	s_add_co_i32 s2, s2, 1
	s_and_b32 s20, ttmp6, 15
	s_mul_i32 s2, ttmp9, s2
	s_getreg_b32 s3, hwreg(HW_REG_IB_STS2, 6, 4)
	s_add_co_i32 s20, s20, s2
	s_cmp_eq_u32 s3, 0
	s_cselect_b32 s2, ttmp9, s20
	s_delay_alu instid0(SALU_CYCLE_1) | instskip(NEXT) | instid1(VALU_DEP_1)
	v_lshl_or_b32 v1, s2, 8, v0
	v_lshrrev_b32_e32 v8, 3, v1
	s_wait_kmcnt 0x0
	s_delay_alu instid0(VALU_DEP_1)
	v_cmp_gt_i64_e64 s2, s[4:5], v[8:9]
	s_and_b32 exec_lo, exec_lo, s2
	s_cbranch_execz .LBB8_21
; %bb.2:
	s_bfe_u32 s2, ttmp6, 0x40014
	s_bfe_u32 s5, ttmp6, 0x40010
	s_lshr_b32 s4, ttmp7, 16
	s_add_co_i32 s2, s2, 1
	s_and_b32 s20, ttmp7, 0xffff
	s_add_co_i32 s5, s5, 1
	s_mul_i32 s2, s4, s2
	s_bfe_u32 s21, ttmp6, 0x40008
	s_mul_i32 s5, s20, s5
	s_bfe_u32 s22, ttmp6, 0x40004
	s_add_co_i32 s21, s21, s2
	s_add_co_i32 s22, s22, s5
	s_cmp_eq_u32 s3, 0
	s_mov_b32 s5, 0
	s_cselect_b32 s4, s4, s21
	v_dual_mov_b32 v15, 0 :: v_dual_lshlrev_b32 v12, 3, v8
	s_mul_u64 s[2:3], s[8:9], s[4:5]
	s_cselect_b32 s34, s20, s22
	s_lshl_b64 s[2:3], s[2:3], 3
	s_delay_alu instid0(VALU_DEP_1)
	v_dual_mov_b32 v19, v15 :: v_dual_bitop2_b32 v16, 7, v0 bitop3:0x40
	s_add_nc_u64 s[2:3], s[12:13], s[2:3]
	v_mov_b32_e32 v18, v15
	global_load_b128 v[2:5], v12, s[2:3]
	s_clause 0x1
	s_load_b256 s[20:27], s[0:1], 0x58
	s_load_b128 s[28:31], s[0:1], 0x78
	v_lshl_or_b32 v14, s34, 3, v16
	s_mov_b32 s3, exec_lo
	s_wait_loadcnt 0x0
	v_cmpx_lt_i64_e64 v[2:3], v[4:5]
	s_cbranch_execz .LBB8_10
; %bb.3:
	v_mad_nc_u64_u32 v[18:19], s10, s4, v[2:3]
	s_wait_kmcnt 0x0
	v_mul_u64_e32 v[20:21], s[20:21], v[14:15]
	v_dual_mov_b32 v17, 0 :: v_dual_lshlrev_b32 v13, 3, v0
	s_mov_b32 s8, s31
	s_mov_b32 s9, s5
	v_lshlrev_b32_e32 v24, 3, v16
	v_sub_nc_u64_e64 v[0:1], v[4:5], s[8:9]
	v_and_b32_e32 v13, 0x7c0, v13
	v_sub_nc_u64_e64 v[2:3], v[2:3], s[8:9]
	v_cmp_gt_i64_e64 s1, s[6:7], v[14:15]
	v_mad_u32 v19, s11, s4, v19
	s_mul_u64 s[10:11], s[22:23], s[4:5]
	v_or_b32_e32 v28, 0x800, v13
	s_bitcmp1_b32 s33, 8
	s_cselect_b32 s0, -1, 0
	s_bitcmp1_b32 s33, 16
	s_delay_alu instid0(VALU_DEP_2) | instskip(NEXT) | instid1(VALU_DEP_1)
	v_add_nc_u64_e32 v[18:19], v[18:19], v[16:17]
	v_sub_nc_u64_e64 v[18:19], v[18:19], s[8:9]
	v_lshl_add_u64 v[4:5], v[20:21], 3, s[18:19]
	s_delay_alu instid0(VALU_DEP_2) | instskip(NEXT) | instid1(VALU_DEP_2)
	v_lshlrev_b64_e32 v[18:19], 3, v[18:19]
	v_lshl_add_u64 v[4:5], s[10:11], 3, v[4:5]
	s_cselect_b32 s11, -1, 0
	s_mov_b32 s10, s5
	s_delay_alu instid0(VALU_DEP_2)
	v_add_nc_u64_e32 v[22:23], s[16:17], v[18:19]
	v_add_nc_u64_e32 v[20:21], s[14:15], v[18:19]
	v_mov_b32_e32 v18, v17
	v_or_b32_e32 v29, v13, v24
	v_dual_mov_b32 v19, v17 :: v_dual_bitop2_b32 v30, v28, v24 bitop3:0x54
	v_add_nc_u64_e32 v[22:23], 4, v[22:23]
	s_branch .LBB8_5
.LBB8_4:                                ;   in Loop: Header=BB8_5 Depth=1
	s_or_b32 exec_lo, exec_lo, s2
	v_add_nc_u64_e32 v[2:3], 8, v[2:3]
	v_add_nc_u64_e32 v[20:21], 64, v[20:21]
	;; [unrolled: 1-line block ×3, first 2 shown]
	s_delay_alu instid0(VALU_DEP_3) | instskip(SKIP_1) | instid1(SALU_CYCLE_1)
	v_cmp_ge_i64_e64 s2, v[2:3], v[0:1]
	s_or_b32 s10, s2, s10
	s_and_not1_b32 exec_lo, exec_lo, s10
	s_cbranch_execz .LBB8_9
.LBB8_5:                                ; =>This Inner Loop Header: Depth=1
	v_add_nc_u64_e32 v[24:25], v[16:17], v[2:3]
	v_mov_b64_e32 v[26:27], 0
	s_barrier_signal -1
	s_barrier_wait -1
	s_delay_alu instid0(VALU_DEP_2)
	v_cmp_lt_i64_e64 s2, v[24:25], v[0:1]
	v_dual_mov_b32 v24, 0 :: v_dual_mov_b32 v25, 0
	s_and_saveexec_b32 s12, s2
	s_cbranch_execz .LBB8_7
; %bb.6:                                ;   in Loop: Header=BB8_5 Depth=1
	global_load_b64 v[24:25], v[22:23], off offset:-4
	global_load_b64 v[26:27], v[20:21], off
	s_wait_loadcnt 0x1
	v_xor_b32_e32 v31, 0x80000000, v25
	s_wait_loadcnt 0x0
	v_sub_nc_u64_e64 v[26:27], v[26:27], s[8:9]
	s_delay_alu instid0(VALU_DEP_2)
	v_cndmask_b32_e64 v25, v25, v31, s0
.LBB8_7:                                ;   in Loop: Header=BB8_5 Depth=1
	s_or_b32 exec_lo, exec_lo, s12
	ds_store_b64 v29, v[26:27]
	ds_store_b64 v30, v[24:25]
	s_wait_dscnt 0x0
	s_barrier_signal -1
	s_barrier_wait -1
	s_and_saveexec_b32 s2, s1
	s_cbranch_execz .LBB8_4
; %bb.8:                                ;   in Loop: Header=BB8_5 Depth=1
	ds_load_b128 v[24:27], v13
	ds_load_b128 v[32:35], v13 offset:16
	s_wait_dscnt 0x1
	v_lshl_add_u64 v[24:25], v[24:25], 3, v[4:5]
	s_wait_dscnt 0x0
	v_lshl_add_u64 v[32:33], v[32:33], 3, v[4:5]
	s_clause 0x1
	global_load_b64 v[36:37], v[24:25], off
	global_load_b64 v[40:41], v[32:33], off
	s_wait_xcnt 0x1
	v_lshl_add_u64 v[24:25], v[26:27], 3, v[4:5]
	s_wait_xcnt 0x0
	v_lshl_add_u64 v[32:33], v[34:35], 3, v[4:5]
	s_clause 0x1
	global_load_b64 v[38:39], v[24:25], off
	global_load_b64 v[42:43], v[32:33], off
	s_wait_xcnt 0x1
	ds_load_b128 v[24:27], v13 offset:32
	s_wait_xcnt 0x0
	ds_load_b128 v[32:35], v13 offset:48
	s_wait_dscnt 0x1
	v_lshl_add_u64 v[24:25], v[24:25], 3, v[4:5]
	global_load_b64 v[44:45], v[24:25], off
	s_wait_xcnt 0x0
	v_lshl_add_u64 v[24:25], v[26:27], 3, v[4:5]
	global_load_b64 v[46:47], v[24:25], off
	s_wait_dscnt 0x0
	s_wait_xcnt 0x0
	v_lshl_add_u64 v[24:25], v[32:33], 3, v[4:5]
	global_load_b64 v[48:49], v[24:25], off
	s_wait_xcnt 0x0
	v_lshl_add_u64 v[24:25], v[34:35], 3, v[4:5]
	global_load_b64 v[50:51], v[24:25], off
	s_wait_xcnt 0x0
	ds_load_b128 v[24:27], v28
	ds_load_b128 v[32:35], v28 offset:16
	s_wait_loadcnt 0x7
	v_cndmask_b32_e64 v52, v37, -v37, s11
	s_wait_dscnt 0x1
	v_pk_fma_f32 v[18:19], v[24:25], v[36:37], v[18:19] op_sel_hi:[1,0,1]
	s_delay_alu instid0(VALU_DEP_1) | instskip(SKIP_3) | instid1(VALU_DEP_3)
	v_pk_fma_f32 v[18:19], v[24:25], v[52:53], v[18:19] op_sel:[1,0,0] op_sel_hi:[0,0,1] neg_lo:[1,0,0]
	v_xor_b32_e32 v24, 0x80000000, v27
	s_wait_loadcnt 0x5
	v_dual_mov_b32 v25, v26 :: v_dual_cndmask_b32 v36, v39, -v39, s11
	v_pk_fma_f32 v[18:19], v[26:27], v[38:39], v[18:19] op_sel_hi:[1,0,1]
	s_delay_alu instid0(VALU_DEP_1) | instskip(SKIP_4) | instid1(VALU_DEP_1)
	v_pk_fma_f32 v[18:19], v[24:25], v[36:37], v[18:19] op_sel_hi:[1,0,1]
	ds_load_b128 v[24:27], v28 offset:32
	v_cndmask_b32_e64 v36, v41, -v41, s11
	s_wait_dscnt 0x1
	v_pk_fma_f32 v[18:19], v[32:33], v[40:41], v[18:19] op_sel_hi:[1,0,1]
	v_pk_fma_f32 v[18:19], v[32:33], v[36:37], v[18:19] op_sel:[1,0,0] op_sel_hi:[0,0,1] neg_lo:[1,0,0]
	v_xor_b32_e32 v32, 0x80000000, v35
	s_wait_loadcnt 0x4
	v_dual_mov_b32 v33, v34 :: v_dual_cndmask_b32 v36, v43, -v43, s11
	s_delay_alu instid0(VALU_DEP_3) | instskip(NEXT) | instid1(VALU_DEP_1)
	v_pk_fma_f32 v[18:19], v[34:35], v[42:43], v[18:19] op_sel_hi:[1,0,1]
	v_pk_fma_f32 v[18:19], v[32:33], v[36:37], v[18:19] op_sel_hi:[1,0,1]
	ds_load_b128 v[32:35], v28 offset:48
	s_wait_loadcnt 0x3
	v_cndmask_b32_e64 v36, v45, -v45, s11
	s_wait_dscnt 0x1
	v_pk_fma_f32 v[18:19], v[24:25], v[44:45], v[18:19] op_sel_hi:[1,0,1]
	s_delay_alu instid0(VALU_DEP_1) | instskip(SKIP_3) | instid1(VALU_DEP_3)
	v_pk_fma_f32 v[18:19], v[24:25], v[36:37], v[18:19] op_sel:[1,0,0] op_sel_hi:[0,0,1] neg_lo:[1,0,0]
	v_xor_b32_e32 v24, 0x80000000, v27
	s_wait_loadcnt 0x2
	v_dual_mov_b32 v25, v26 :: v_dual_cndmask_b32 v36, v47, -v47, s11
	v_pk_fma_f32 v[18:19], v[26:27], v[46:47], v[18:19] op_sel_hi:[1,0,1]
	s_wait_loadcnt 0x0
	v_cndmask_b32_e64 v26, v51, -v51, s11
	s_delay_alu instid0(VALU_DEP_2) | instskip(SKIP_2) | instid1(VALU_DEP_2)
	v_pk_fma_f32 v[18:19], v[24:25], v[36:37], v[18:19] op_sel_hi:[1,0,1]
	v_cndmask_b32_e64 v24, v49, -v49, s11
	s_wait_dscnt 0x0
	v_pk_fma_f32 v[18:19], v[32:33], v[48:49], v[18:19] op_sel_hi:[1,0,1]
	s_delay_alu instid0(VALU_DEP_1) | instskip(SKIP_2) | instid1(VALU_DEP_3)
	v_pk_fma_f32 v[18:19], v[32:33], v[24:25], v[18:19] op_sel:[1,0,0] op_sel_hi:[0,0,1] neg_lo:[1,0,0]
	v_xor_b32_e32 v24, 0x80000000, v35
	v_mov_b32_e32 v25, v34
	v_pk_fma_f32 v[18:19], v[34:35], v[50:51], v[18:19] op_sel_hi:[1,0,1]
	s_delay_alu instid0(VALU_DEP_1)
	v_pk_fma_f32 v[18:19], v[24:25], v[26:27], v[18:19] op_sel_hi:[1,0,1]
	s_branch .LBB8_4
.LBB8_9:
	s_or_b32 exec_lo, exec_lo, s10
.LBB8_10:
	s_delay_alu instid0(SALU_CYCLE_1)
	s_or_b32 exec_lo, exec_lo, s3
	s_wait_xcnt 0x0
	v_cmp_gt_i64_e64 s0, s[6:7], v[14:15]
	s_and_b32 exec_lo, exec_lo, s0
	s_cbranch_execz .LBB8_21
; %bb.11:
	v_cmp_neq_f32_e64 s0, 0, v6
	s_xor_b32 s1, vcc_lo, -1
	v_xor_b32_e32 v2, 0x80000000, v11
	s_mov_b32 s6, -1
	s_or_b32 s3, s0, s1
	s_wait_kmcnt 0x0
	s_cmp_lg_u32 s30, 1
	s_mul_u64 s[0:1], s[28:29], s[4:5]
	s_cselect_b32 s2, -1, 0
	s_and_saveexec_b32 s4, s3
	s_delay_alu instid0(SALU_CYCLE_1)
	s_xor_b32 s3, exec_lo, s4
	s_cbranch_execz .LBB8_16
; %bb.12:
	v_mov_b32_e32 v3, v10
	s_and_b32 vcc_lo, exec_lo, s2
	s_delay_alu instid0(VALU_DEP_1) | instskip(NEXT) | instid1(VALU_DEP_1)
	v_pk_mul_f32 v[0:1], v[18:19], v[2:3] op_sel:[1,0]
	v_pk_fma_f32 v[4:5], v[10:11], v[18:19], v[0:1] op_sel_hi:[1,0,1]
	v_xor_b32_e32 v0, 0x80000000, v7
	s_cbranch_vccz .LBB8_14
; %bb.13:
	v_mul_u64_e32 v[2:3], s[26:27], v[8:9]
	v_mov_b32_e32 v1, v6
	s_mov_b32 s6, 0
	s_delay_alu instid0(VALU_DEP_2) | instskip(NEXT) | instid1(VALU_DEP_1)
	v_lshl_add_u64 v[2:3], v[2:3], 3, s[24:25]
	v_lshl_add_u64 v[2:3], v[14:15], 3, v[2:3]
	s_delay_alu instid0(VALU_DEP_1) | instskip(SKIP_3) | instid1(VALU_DEP_1)
	v_lshl_add_u64 v[2:3], s[0:1], 3, v[2:3]
	global_load_b64 v[8:9], v[2:3], off
	s_wait_loadcnt 0x0
	v_pk_fma_f32 v[10:11], v[6:7], v[8:9], v[4:5] op_sel_hi:[1,0,1]
	v_pk_fma_f32 v[8:9], v[0:1], v[8:9], v[10:11] op_sel:[0,1,0]
	global_store_b64 v[2:3], v[8:9], off
.LBB8_14:
	s_and_not1_b32 vcc_lo, exec_lo, s6
                                        ; implicit-def: $vgpr10_vgpr11
                                        ; implicit-def: $vgpr2
                                        ; implicit-def: $vgpr18_vgpr19
                                        ; implicit-def: $vgpr8_vgpr9
	s_cbranch_vccnz .LBB8_16
; %bb.15:
	s_wait_xcnt 0x0
	v_mul_u64_e32 v[2:3], s[26:27], v[14:15]
	v_dual_mov_b32 v13, 0 :: v_dual_mov_b32 v1, v6
                                        ; implicit-def: $vgpr14_vgpr15
                                        ; implicit-def: $vgpr10_vgpr11
                                        ; implicit-def: $vgpr18_vgpr19
	s_delay_alu instid0(VALU_DEP_2) | instskip(NEXT) | instid1(VALU_DEP_1)
	v_lshl_add_u64 v[2:3], v[2:3], 3, s[24:25]
	v_add_nc_u64_e32 v[2:3], v[2:3], v[12:13]
                                        ; implicit-def: $vgpr12
	s_delay_alu instid0(VALU_DEP_1) | instskip(SKIP_3) | instid1(VALU_DEP_1)
	v_lshl_add_u64 v[2:3], s[0:1], 3, v[2:3]
	global_load_b64 v[8:9], v[2:3], off
	s_wait_loadcnt 0x0
	v_pk_fma_f32 v[4:5], v[6:7], v[8:9], v[4:5] op_sel_hi:[1,0,1]
	v_pk_fma_f32 v[0:1], v[0:1], v[8:9], v[4:5] op_sel:[0,1,0]
                                        ; implicit-def: $vgpr8_vgpr9
	global_store_b64 v[2:3], v[0:1], off
                                        ; implicit-def: $vgpr2
.LBB8_16:
	s_wait_xcnt 0x0
	s_and_not1_saveexec_b32 s3, s3
	s_cbranch_execz .LBB8_21
; %bb.17:
	v_mov_b32_e32 v3, v10
	s_and_b32 vcc_lo, exec_lo, s2
	s_mov_b32 s2, -1
	s_delay_alu instid0(VALU_DEP_1) | instskip(NEXT) | instid1(VALU_DEP_1)
	v_pk_mul_f32 v[0:1], v[18:19], v[2:3] op_sel:[1,0]
	v_pk_fma_f32 v[0:1], v[10:11], v[18:19], v[0:1] op_sel_hi:[1,0,1]
	s_cbranch_vccz .LBB8_19
; %bb.18:
	v_mul_u64_e32 v[2:3], s[26:27], v[8:9]
	s_mov_b32 s2, 0
	s_delay_alu instid0(VALU_DEP_1) | instskip(NEXT) | instid1(VALU_DEP_1)
	v_lshl_add_u64 v[2:3], v[2:3], 3, s[24:25]
	v_lshl_add_u64 v[2:3], v[14:15], 3, v[2:3]
	s_delay_alu instid0(VALU_DEP_1)
	v_lshl_add_u64 v[2:3], s[0:1], 3, v[2:3]
	global_store_b64 v[2:3], v[0:1], off
.LBB8_19:
	s_and_not1_b32 vcc_lo, exec_lo, s2
	s_cbranch_vccnz .LBB8_21
; %bb.20:
	s_wait_xcnt 0x0
	v_mul_u64_e32 v[2:3], s[26:27], v[14:15]
	v_mov_b32_e32 v13, 0
	s_delay_alu instid0(VALU_DEP_2) | instskip(NEXT) | instid1(VALU_DEP_1)
	v_lshl_add_u64 v[2:3], v[2:3], 3, s[24:25]
	v_add_nc_u64_e32 v[2:3], v[2:3], v[12:13]
	s_delay_alu instid0(VALU_DEP_1)
	v_lshl_add_u64 v[2:3], s[0:1], 3, v[2:3]
	global_store_b64 v[2:3], v[0:1], off
.LBB8_21:
	s_endpgm
	.section	.rodata,"a",@progbits
	.p2align	6, 0x0
	.amdhsa_kernel _ZN9rocsparse31csrmmnn_row_split_shared_kernelILj256ELj8E21rocsparse_complex_numIfEllS2_S2_S2_EEvNS_24const_host_device_scalarIT1_EES5_bbbT3_S6_llPKT2_PKS6_PKT4_PKT5_llPT6_ll16rocsparse_order_21rocsparse_index_base_
		.amdhsa_group_segment_fixed_size 4096
		.amdhsa_private_segment_fixed_size 0
		.amdhsa_kernarg_size 136
		.amdhsa_user_sgpr_count 2
		.amdhsa_user_sgpr_dispatch_ptr 0
		.amdhsa_user_sgpr_queue_ptr 0
		.amdhsa_user_sgpr_kernarg_segment_ptr 1
		.amdhsa_user_sgpr_dispatch_id 0
		.amdhsa_user_sgpr_kernarg_preload_length 0
		.amdhsa_user_sgpr_kernarg_preload_offset 0
		.amdhsa_user_sgpr_private_segment_size 0
		.amdhsa_wavefront_size32 1
		.amdhsa_uses_dynamic_stack 0
		.amdhsa_enable_private_segment 0
		.amdhsa_system_sgpr_workgroup_id_x 1
		.amdhsa_system_sgpr_workgroup_id_y 1
		.amdhsa_system_sgpr_workgroup_id_z 1
		.amdhsa_system_sgpr_workgroup_info 0
		.amdhsa_system_vgpr_workitem_id 0
		.amdhsa_next_free_vgpr 54
		.amdhsa_next_free_sgpr 35
		.amdhsa_named_barrier_count 0
		.amdhsa_reserve_vcc 1
		.amdhsa_float_round_mode_32 0
		.amdhsa_float_round_mode_16_64 0
		.amdhsa_float_denorm_mode_32 3
		.amdhsa_float_denorm_mode_16_64 3
		.amdhsa_fp16_overflow 0
		.amdhsa_memory_ordered 1
		.amdhsa_forward_progress 1
		.amdhsa_inst_pref_size 15
		.amdhsa_round_robin_scheduling 0
		.amdhsa_exception_fp_ieee_invalid_op 0
		.amdhsa_exception_fp_denorm_src 0
		.amdhsa_exception_fp_ieee_div_zero 0
		.amdhsa_exception_fp_ieee_overflow 0
		.amdhsa_exception_fp_ieee_underflow 0
		.amdhsa_exception_fp_ieee_inexact 0
		.amdhsa_exception_int_div_zero 0
	.end_amdhsa_kernel
	.section	.text._ZN9rocsparse31csrmmnn_row_split_shared_kernelILj256ELj8E21rocsparse_complex_numIfEllS2_S2_S2_EEvNS_24const_host_device_scalarIT1_EES5_bbbT3_S6_llPKT2_PKS6_PKT4_PKT5_llPT6_ll16rocsparse_order_21rocsparse_index_base_,"axG",@progbits,_ZN9rocsparse31csrmmnn_row_split_shared_kernelILj256ELj8E21rocsparse_complex_numIfEllS2_S2_S2_EEvNS_24const_host_device_scalarIT1_EES5_bbbT3_S6_llPKT2_PKS6_PKT4_PKT5_llPT6_ll16rocsparse_order_21rocsparse_index_base_,comdat
.Lfunc_end8:
	.size	_ZN9rocsparse31csrmmnn_row_split_shared_kernelILj256ELj8E21rocsparse_complex_numIfEllS2_S2_S2_EEvNS_24const_host_device_scalarIT1_EES5_bbbT3_S6_llPKT2_PKS6_PKT4_PKT5_llPT6_ll16rocsparse_order_21rocsparse_index_base_, .Lfunc_end8-_ZN9rocsparse31csrmmnn_row_split_shared_kernelILj256ELj8E21rocsparse_complex_numIfEllS2_S2_S2_EEvNS_24const_host_device_scalarIT1_EES5_bbbT3_S6_llPKT2_PKS6_PKT4_PKT5_llPT6_ll16rocsparse_order_21rocsparse_index_base_
                                        ; -- End function
	.set _ZN9rocsparse31csrmmnn_row_split_shared_kernelILj256ELj8E21rocsparse_complex_numIfEllS2_S2_S2_EEvNS_24const_host_device_scalarIT1_EES5_bbbT3_S6_llPKT2_PKS6_PKT4_PKT5_llPT6_ll16rocsparse_order_21rocsparse_index_base_.num_vgpr, 54
	.set _ZN9rocsparse31csrmmnn_row_split_shared_kernelILj256ELj8E21rocsparse_complex_numIfEllS2_S2_S2_EEvNS_24const_host_device_scalarIT1_EES5_bbbT3_S6_llPKT2_PKS6_PKT4_PKT5_llPT6_ll16rocsparse_order_21rocsparse_index_base_.num_agpr, 0
	.set _ZN9rocsparse31csrmmnn_row_split_shared_kernelILj256ELj8E21rocsparse_complex_numIfEllS2_S2_S2_EEvNS_24const_host_device_scalarIT1_EES5_bbbT3_S6_llPKT2_PKS6_PKT4_PKT5_llPT6_ll16rocsparse_order_21rocsparse_index_base_.numbered_sgpr, 35
	.set _ZN9rocsparse31csrmmnn_row_split_shared_kernelILj256ELj8E21rocsparse_complex_numIfEllS2_S2_S2_EEvNS_24const_host_device_scalarIT1_EES5_bbbT3_S6_llPKT2_PKS6_PKT4_PKT5_llPT6_ll16rocsparse_order_21rocsparse_index_base_.num_named_barrier, 0
	.set _ZN9rocsparse31csrmmnn_row_split_shared_kernelILj256ELj8E21rocsparse_complex_numIfEllS2_S2_S2_EEvNS_24const_host_device_scalarIT1_EES5_bbbT3_S6_llPKT2_PKS6_PKT4_PKT5_llPT6_ll16rocsparse_order_21rocsparse_index_base_.private_seg_size, 0
	.set _ZN9rocsparse31csrmmnn_row_split_shared_kernelILj256ELj8E21rocsparse_complex_numIfEllS2_S2_S2_EEvNS_24const_host_device_scalarIT1_EES5_bbbT3_S6_llPKT2_PKS6_PKT4_PKT5_llPT6_ll16rocsparse_order_21rocsparse_index_base_.uses_vcc, 1
	.set _ZN9rocsparse31csrmmnn_row_split_shared_kernelILj256ELj8E21rocsparse_complex_numIfEllS2_S2_S2_EEvNS_24const_host_device_scalarIT1_EES5_bbbT3_S6_llPKT2_PKS6_PKT4_PKT5_llPT6_ll16rocsparse_order_21rocsparse_index_base_.uses_flat_scratch, 1
	.set _ZN9rocsparse31csrmmnn_row_split_shared_kernelILj256ELj8E21rocsparse_complex_numIfEllS2_S2_S2_EEvNS_24const_host_device_scalarIT1_EES5_bbbT3_S6_llPKT2_PKS6_PKT4_PKT5_llPT6_ll16rocsparse_order_21rocsparse_index_base_.has_dyn_sized_stack, 0
	.set _ZN9rocsparse31csrmmnn_row_split_shared_kernelILj256ELj8E21rocsparse_complex_numIfEllS2_S2_S2_EEvNS_24const_host_device_scalarIT1_EES5_bbbT3_S6_llPKT2_PKS6_PKT4_PKT5_llPT6_ll16rocsparse_order_21rocsparse_index_base_.has_recursion, 0
	.set _ZN9rocsparse31csrmmnn_row_split_shared_kernelILj256ELj8E21rocsparse_complex_numIfEllS2_S2_S2_EEvNS_24const_host_device_scalarIT1_EES5_bbbT3_S6_llPKT2_PKS6_PKT4_PKT5_llPT6_ll16rocsparse_order_21rocsparse_index_base_.has_indirect_call, 0
	.section	.AMDGPU.csdata,"",@progbits
; Kernel info:
; codeLenInByte = 1872
; TotalNumSgprs: 37
; NumVgprs: 54
; ScratchSize: 0
; MemoryBound: 0
; FloatMode: 240
; IeeeMode: 1
; LDSByteSize: 4096 bytes/workgroup (compile time only)
; SGPRBlocks: 0
; VGPRBlocks: 3
; NumSGPRsForWavesPerEU: 37
; NumVGPRsForWavesPerEU: 54
; NamedBarCnt: 0
; Occupancy: 16
; WaveLimiterHint : 0
; COMPUTE_PGM_RSRC2:SCRATCH_EN: 0
; COMPUTE_PGM_RSRC2:USER_SGPR: 2
; COMPUTE_PGM_RSRC2:TRAP_HANDLER: 0
; COMPUTE_PGM_RSRC2:TGID_X_EN: 1
; COMPUTE_PGM_RSRC2:TGID_Y_EN: 1
; COMPUTE_PGM_RSRC2:TGID_Z_EN: 1
; COMPUTE_PGM_RSRC2:TIDIG_COMP_CNT: 0
	.section	.text._ZN9rocsparse31csrmmnn_row_split_shared_kernelILj256ELj8E21rocsparse_complex_numIdEiiS2_S2_S2_EEvNS_24const_host_device_scalarIT1_EES5_bbbT3_S6_llPKT2_PKS6_PKT4_PKT5_llPT6_ll16rocsparse_order_21rocsparse_index_base_,"axG",@progbits,_ZN9rocsparse31csrmmnn_row_split_shared_kernelILj256ELj8E21rocsparse_complex_numIdEiiS2_S2_S2_EEvNS_24const_host_device_scalarIT1_EES5_bbbT3_S6_llPKT2_PKS6_PKT4_PKT5_llPT6_ll16rocsparse_order_21rocsparse_index_base_,comdat
	.protected	_ZN9rocsparse31csrmmnn_row_split_shared_kernelILj256ELj8E21rocsparse_complex_numIdEiiS2_S2_S2_EEvNS_24const_host_device_scalarIT1_EES5_bbbT3_S6_llPKT2_PKS6_PKT4_PKT5_llPT6_ll16rocsparse_order_21rocsparse_index_base_ ; -- Begin function _ZN9rocsparse31csrmmnn_row_split_shared_kernelILj256ELj8E21rocsparse_complex_numIdEiiS2_S2_S2_EEvNS_24const_host_device_scalarIT1_EES5_bbbT3_S6_llPKT2_PKS6_PKT4_PKT5_llPT6_ll16rocsparse_order_21rocsparse_index_base_
	.globl	_ZN9rocsparse31csrmmnn_row_split_shared_kernelILj256ELj8E21rocsparse_complex_numIdEiiS2_S2_S2_EEvNS_24const_host_device_scalarIT1_EES5_bbbT3_S6_llPKT2_PKS6_PKT4_PKT5_llPT6_ll16rocsparse_order_21rocsparse_index_base_
	.p2align	8
	.type	_ZN9rocsparse31csrmmnn_row_split_shared_kernelILj256ELj8E21rocsparse_complex_numIdEiiS2_S2_S2_EEvNS_24const_host_device_scalarIT1_EES5_bbbT3_S6_llPKT2_PKS6_PKT4_PKT5_llPT6_ll16rocsparse_order_21rocsparse_index_base_,@function
_ZN9rocsparse31csrmmnn_row_split_shared_kernelILj256ELj8E21rocsparse_complex_numIdEiiS2_S2_S2_EEvNS_24const_host_device_scalarIT1_EES5_bbbT3_S6_llPKT2_PKS6_PKT4_PKT5_llPT6_ll16rocsparse_order_21rocsparse_index_base_: ; @_ZN9rocsparse31csrmmnn_row_split_shared_kernelILj256ELj8E21rocsparse_complex_numIdEiiS2_S2_S2_EEvNS_24const_host_device_scalarIT1_EES5_bbbT3_S6_llPKT2_PKS6_PKT4_PKT5_llPT6_ll16rocsparse_order_21rocsparse_index_base_
; %bb.0:
	s_clause 0x1
	s_load_b32 s3, s[0:1], 0x20
	s_load_b64 s[4:5], s[0:1], 0x0
	v_mov_b32_e32 v1, 0
	s_load_b64 s[6:7], s[0:1], 0x10
	s_wait_kmcnt 0x0
	s_bitcmp1_b32 s3, 0
	s_cselect_b32 s5, s1, s5
	s_cselect_b32 s4, s0, s4
	flat_load_b128 v[6:9], v1, s[4:5]
	s_wait_xcnt 0x0
	s_add_nc_u64 s[4:5], s[0:1], 16
	s_delay_alu instid0(SALU_CYCLE_1)
	s_cselect_b32 s5, s5, s7
	s_cselect_b32 s4, s4, s6
	flat_load_b128 v[2:5], v1, s[4:5]
	s_wait_loadcnt_dscnt 0x101
	v_cmp_eq_f64_e32 vcc_lo, 0, v[6:7]
	v_cmp_eq_f64_e64 s2, 0, v[8:9]
	s_wait_xcnt 0x0
	s_and_b32 s5, vcc_lo, s2
	s_mov_b32 s2, -1
	s_and_saveexec_b32 s4, s5
	s_cbranch_execz .LBB9_2
; %bb.1:
	s_wait_loadcnt_dscnt 0x0
	v_cmp_neq_f64_e32 vcc_lo, 1.0, v[2:3]
	v_cmp_neq_f64_e64 s2, 0, v[4:5]
	s_or_b32 s2, vcc_lo, s2
	s_delay_alu instid0(SALU_CYCLE_1)
	s_or_not1_b32 s2, s2, exec_lo
.LBB9_2:
	s_or_b32 exec_lo, exec_lo, s4
	s_and_saveexec_b32 s4, s2
	s_cbranch_execz .LBB9_23
; %bb.3:
	s_bfe_u32 s2, ttmp6, 0x4000c
	s_load_b96 s[20:22], s[0:1], 0x20
	s_add_co_i32 s2, s2, 1
	s_and_b32 s4, ttmp6, 15
	s_mul_i32 s5, ttmp9, s2
	s_getreg_b32 s2, hwreg(HW_REG_IB_STS2, 6, 4)
	s_add_co_i32 s4, s4, s5
	s_cmp_eq_u32 s2, 0
	s_mov_b32 s25, 0
	s_cselect_b32 s4, ttmp9, s4
	s_delay_alu instid0(SALU_CYCLE_1) | instskip(NEXT) | instid1(VALU_DEP_1)
	v_lshl_or_b32 v1, s4, 8, v0
	v_lshrrev_b32_e32 v14, 3, v1
	s_wait_kmcnt 0x0
	s_delay_alu instid0(VALU_DEP_1)
	v_cmp_gt_i32_e32 vcc_lo, s21, v14
	s_and_b32 exec_lo, exec_lo, vcc_lo
	s_cbranch_execz .LBB9_23
; %bb.4:
	s_load_b512 s[4:19], s[0:1], 0x30
	s_bfe_u32 s21, ttmp6, 0x40014
	s_bfe_u32 s24, ttmp6, 0x40010
	s_lshr_b32 s23, ttmp7, 16
	s_add_co_i32 s21, s21, 1
	s_and_b32 s26, ttmp7, 0xffff
	s_add_co_i32 s24, s24, 1
	s_mul_i32 s21, s23, s21
	s_bfe_u32 s27, ttmp6, 0x40008
	s_mul_i32 s24, s26, s24
	s_bfe_u32 s28, ttmp6, 0x40004
	s_add_co_i32 s27, s27, s21
	s_add_co_i32 s28, s28, s24
	s_cmp_eq_u32 s2, 0
	v_dual_lshlrev_b32 v1, 2, v14 :: v_dual_bitop2_b32 v24, 7, v0 bitop3:0x40
	s_cselect_b32 s24, s23, s27
	s_cselect_b32 s2, s26, s28
	v_mov_b64_e32 v[18:19], 0
	v_mov_b64_e32 v[20:21], 0
	s_wait_kmcnt 0x0
	s_mul_u64 s[4:5], s[4:5], s[24:25]
	v_lshl_or_b32 v16, s2, 3, v24
	s_lshl_b64 s[4:5], s[4:5], 2
	v_mov_b32_e32 v15, 0
	s_add_nc_u64 s[4:5], s[8:9], s[4:5]
	s_load_b64 s[8:9], s[0:1], 0x88
	global_load_b64 v[10:11], v1, s[4:5]
	v_ashrrev_i32_e32 v17, 31, v16
	s_wait_xcnt 0x0
	s_mov_b32 s5, exec_lo
	s_wait_loadcnt 0x0
	v_cmpx_lt_i32_e64 v10, v11
	s_cbranch_execz .LBB9_12
; %bb.5:
	v_mul_u64_e32 v[12:13], s[16:17], v[16:17]
	v_lshrrev_b32_e32 v0, 3, v0
	v_mov_b64_e32 v[18:19], 0
	v_mov_b64_e32 v[20:21], 0
	s_bitcmp1_b32 s3, 8
	s_wait_kmcnt 0x0
	v_subrev_nc_u32_e32 v25, s9, v11
	v_lshl_or_b32 v26, v0, 5, 0x1000
	v_lshlrev_b32_e32 v27, 7, v0
	v_subrev_nc_u32_e32 v28, s9, v10
	v_cmp_gt_i32_e64 s2, s22, v16
	s_cselect_b32 vcc_lo, -1, 0
	v_lshl_or_b32 v29, v24, 2, v26
	v_lshl_or_b32 v30, v24, 4, v27
	s_bitcmp1_b32 s20, 16
	s_mul_u64 s[6:7], s[6:7], s[24:25]
	s_cselect_b32 s3, -1, 0
	v_lshl_add_u64 v[0:1], v[12:13], 4, s[14:15]
	s_mul_u64 s[14:15], s[18:19], s[24:25]
	s_delay_alu instid0(VALU_DEP_1) | instid1(SALU_CYCLE_1)
	v_lshl_add_u64 v[0:1], s[14:15], 4, v[0:1]
	s_mov_b32 s14, 0
	s_branch .LBB9_7
.LBB9_6:                                ;   in Loop: Header=BB9_7 Depth=1
	s_or_b32 exec_lo, exec_lo, s4
	v_add_nc_u32_e32 v28, 8, v28
	s_delay_alu instid0(VALU_DEP_1) | instskip(SKIP_1) | instid1(SALU_CYCLE_1)
	v_cmp_ge_i32_e64 s4, v28, v25
	s_or_b32 s14, s4, s14
	s_and_not1_b32 exec_lo, exec_lo, s14
	s_cbranch_execz .LBB9_11
.LBB9_7:                                ; =>This Inner Loop Header: Depth=1
	v_mov_b64_e32 v[10:11], 0
	v_mov_b64_e32 v[12:13], 0
	v_dual_mov_b32 v23, 0 :: v_dual_add_nc_u32 v22, v24, v28
	s_mov_b32 s15, exec_lo
	s_wait_dscnt 0x0
	s_barrier_signal -1
	s_barrier_wait -1
	v_cmpx_lt_i32_e64 v22, v25
	s_cbranch_execz .LBB9_9
; %bb.8:                                ;   in Loop: Header=BB9_7 Depth=1
	v_ashrrev_i32_e32 v23, 31, v22
	s_delay_alu instid0(VALU_DEP_1) | instskip(NEXT) | instid1(VALU_DEP_1)
	v_add_nc_u64_e32 v[10:11], s[6:7], v[22:23]
	v_lshl_add_u64 v[22:23], v[10:11], 4, s[12:13]
	v_lshl_add_u64 v[32:33], v[10:11], 2, s[10:11]
	global_load_b128 v[10:13], v[22:23], off
	global_load_b32 v31, v[32:33], off
	s_wait_loadcnt 0x1
	s_wait_xcnt 0x1
	v_xor_b32_e32 v22, 0x80000000, v13
	s_wait_loadcnt 0x0
	v_subrev_nc_u32_e32 v23, s9, v31
	s_delay_alu instid0(VALU_DEP_2)
	v_cndmask_b32_e32 v13, v13, v22, vcc_lo
.LBB9_9:                                ;   in Loop: Header=BB9_7 Depth=1
	s_or_b32 exec_lo, exec_lo, s15
	ds_store_b32 v29, v23
	ds_store_b128 v30, v[10:13]
	s_wait_dscnt 0x0
	s_barrier_signal -1
	s_barrier_wait -1
	s_and_saveexec_b32 s4, s2
	s_cbranch_execz .LBB9_6
; %bb.10:                               ;   in Loop: Header=BB9_7 Depth=1
	ds_load_b128 v[10:13], v26
	ds_load_b128 v[32:35], v26 offset:16
	ds_load_b128 v[52:55], v27
	ds_load_b128 v[56:59], v27 offset:16
	s_wait_dscnt 0x3
	v_dual_mov_b32 v22, v10 :: v_dual_ashrrev_i32 v23, 31, v10
	s_delay_alu instid0(VALU_DEP_1) | instskip(SKIP_3) | instid1(VALU_DEP_1)
	v_lshl_add_u64 v[22:23], v[22:23], 4, v[0:1]
	global_load_b128 v[36:39], v[22:23], off
	s_wait_xcnt 0x0
	v_dual_mov_b32 v22, v11 :: v_dual_ashrrev_i32 v23, 31, v11
	v_lshl_add_u64 v[10:11], v[22:23], 4, v[0:1]
	s_wait_dscnt 0x2
	v_dual_mov_b32 v22, v32 :: v_dual_ashrrev_i32 v23, 31, v32
	global_load_b128 v[40:43], v[10:11], off
	v_lshl_add_u64 v[22:23], v[22:23], 4, v[0:1]
	global_load_b128 v[48:51], v[22:23], off
	s_wait_xcnt 0x0
	v_dual_mov_b32 v22, v33 :: v_dual_ashrrev_i32 v23, 31, v33
	s_delay_alu instid0(VALU_DEP_1)
	v_lshl_add_u64 v[22:23], v[22:23], 4, v[0:1]
	global_load_b128 v[60:63], v[22:23], off
	s_wait_loadcnt_dscnt 0x301
	v_fmac_f64_e32 v[20:21], v[52:53], v[36:37]
	v_fmac_f64_e32 v[18:19], v[54:55], v[36:37]
	s_wait_xcnt 0x0
	v_xor_b32_e32 v22, 0x80000000, v39
	s_delay_alu instid0(VALU_DEP_1) | instskip(NEXT) | instid1(VALU_DEP_1)
	v_cndmask_b32_e64 v39, v39, v22, s3
	v_fma_f64 v[32:33], -v[54:55], v[38:39], v[20:21]
	v_dual_mov_b32 v20, v34 :: v_dual_ashrrev_i32 v21, 31, v34
	v_fmac_f64_e32 v[18:19], v[52:53], v[38:39]
	ds_load_b128 v[36:39], v27 offset:32
	v_lshl_add_u64 v[20:21], v[20:21], 4, v[0:1]
	global_load_b128 v[20:23], v[20:21], off
	v_dual_mov_b32 v10, v12 :: v_dual_ashrrev_i32 v11, 31, v12
	s_wait_loadcnt 0x3
	v_xor_b32_e32 v31, 0x80000000, v43
	s_delay_alu instid0(VALU_DEP_2) | instskip(NEXT) | instid1(VALU_DEP_2)
	v_lshl_add_u64 v[10:11], v[10:11], 4, v[0:1]
	v_cndmask_b32_e64 v43, v43, v31, s3
	global_load_b128 v[44:47], v[10:11], off
	s_wait_dscnt 0x1
	v_fmac_f64_e32 v[32:33], v[56:57], v[40:41]
	v_fmac_f64_e32 v[18:19], v[58:59], v[40:41]
	s_delay_alu instid0(VALU_DEP_2) | instskip(SKIP_1) | instid1(VALU_DEP_3)
	v_fma_f64 v[52:53], -v[58:59], v[42:43], v[32:33]
	v_dual_mov_b32 v32, v35 :: v_dual_ashrrev_i32 v33, 31, v35
	v_fmac_f64_e32 v[18:19], v[56:57], v[42:43]
	s_delay_alu instid0(VALU_DEP_2) | instskip(SKIP_4) | instid1(VALU_DEP_1)
	v_lshl_add_u64 v[40:41], v[32:33], 4, v[0:1]
	ds_load_b128 v[32:35], v27 offset:48
	global_load_b128 v[40:43], v[40:41], off
	s_wait_xcnt 0x1
	v_dual_mov_b32 v10, v13 :: v_dual_ashrrev_i32 v11, 31, v13
	v_lshl_add_u64 v[10:11], v[10:11], 4, v[0:1]
	global_load_b128 v[10:13], v[10:11], off
	s_wait_loadcnt_dscnt 0x201
	v_fmac_f64_e32 v[52:53], v[36:37], v[44:45]
	v_fmac_f64_e32 v[18:19], v[38:39], v[44:45]
	v_xor_b32_e32 v31, 0x80000000, v47
	s_delay_alu instid0(VALU_DEP_1) | instskip(SKIP_1) | instid1(VALU_DEP_1)
	v_cndmask_b32_e64 v47, v47, v31, s3
	v_xor_b32_e32 v31, 0x80000000, v51
	v_cndmask_b32_e64 v51, v51, v31, s3
	s_delay_alu instid0(VALU_DEP_3) | instskip(SKIP_2) | instid1(VALU_DEP_2)
	v_fma_f64 v[38:39], -v[38:39], v[46:47], v[52:53]
	v_fmac_f64_e32 v[18:19], v[36:37], v[46:47]
	s_wait_loadcnt_dscnt 0x0
	v_fmac_f64_e32 v[38:39], v[32:33], v[10:11]
	s_delay_alu instid0(VALU_DEP_2) | instskip(SKIP_1) | instid1(VALU_DEP_1)
	v_fmac_f64_e32 v[18:19], v[34:35], v[10:11]
	v_xor_b32_e32 v10, 0x80000000, v13
	v_cndmask_b32_e64 v13, v13, v10, s3
	s_delay_alu instid0(VALU_DEP_1) | instskip(NEXT) | instid1(VALU_DEP_4)
	v_fma_f64 v[36:37], -v[34:35], v[12:13], v[38:39]
	v_fmac_f64_e32 v[18:19], v[32:33], v[12:13]
	ds_load_b128 v[10:13], v27 offset:64
	ds_load_b128 v[32:35], v27 offset:80
	s_wait_dscnt 0x1
	v_fmac_f64_e32 v[36:37], v[10:11], v[48:49]
	v_fmac_f64_e32 v[18:19], v[12:13], v[48:49]
	s_delay_alu instid0(VALU_DEP_2) | instskip(NEXT) | instid1(VALU_DEP_2)
	v_fma_f64 v[12:13], -v[12:13], v[50:51], v[36:37]
	v_fmac_f64_e32 v[18:19], v[10:11], v[50:51]
	v_xor_b32_e32 v10, 0x80000000, v63
	s_delay_alu instid0(VALU_DEP_1) | instskip(SKIP_1) | instid1(VALU_DEP_4)
	v_cndmask_b32_e64 v63, v63, v10, s3
	s_wait_dscnt 0x0
	v_fmac_f64_e32 v[12:13], v[32:33], v[60:61]
	s_delay_alu instid0(VALU_DEP_4) | instskip(NEXT) | instid1(VALU_DEP_2)
	v_fmac_f64_e32 v[18:19], v[34:35], v[60:61]
	v_fma_f64 v[36:37], -v[34:35], v[62:63], v[12:13]
	s_delay_alu instid0(VALU_DEP_2)
	v_fmac_f64_e32 v[18:19], v[32:33], v[62:63]
	ds_load_b128 v[10:13], v27 offset:96
	ds_load_b128 v[32:35], v27 offset:112
	s_wait_dscnt 0x1
	v_fmac_f64_e32 v[36:37], v[10:11], v[20:21]
	v_fmac_f64_e32 v[18:19], v[12:13], v[20:21]
	v_xor_b32_e32 v20, 0x80000000, v23
	s_delay_alu instid0(VALU_DEP_1) | instskip(NEXT) | instid1(VALU_DEP_1)
	v_cndmask_b32_e64 v23, v23, v20, s3
	v_fma_f64 v[12:13], -v[12:13], v[22:23], v[36:37]
	s_delay_alu instid0(VALU_DEP_4) | instskip(SKIP_1) | instid1(VALU_DEP_1)
	v_fmac_f64_e32 v[18:19], v[10:11], v[22:23]
	v_xor_b32_e32 v10, 0x80000000, v43
	v_cndmask_b32_e64 v43, v43, v10, s3
	s_wait_dscnt 0x0
	s_delay_alu instid0(VALU_DEP_4) | instskip(NEXT) | instid1(VALU_DEP_4)
	v_fmac_f64_e32 v[12:13], v[32:33], v[40:41]
	v_fmac_f64_e32 v[18:19], v[34:35], v[40:41]
	s_delay_alu instid0(VALU_DEP_2) | instskip(NEXT) | instid1(VALU_DEP_2)
	v_fma_f64 v[20:21], -v[34:35], v[42:43], v[12:13]
	v_fmac_f64_e32 v[18:19], v[32:33], v[42:43]
	s_branch .LBB9_6
.LBB9_11:
	s_or_b32 exec_lo, exec_lo, s14
.LBB9_12:
	s_delay_alu instid0(SALU_CYCLE_1)
	s_or_b32 exec_lo, exec_lo, s5
	v_cmp_gt_i32_e32 vcc_lo, s22, v16
	s_and_b32 exec_lo, exec_lo, vcc_lo
	s_cbranch_execz .LBB9_23
; %bb.13:
	v_mul_f64_e64 v[10:11], v[18:19], -v[8:9]
	v_mul_f64_e32 v[12:13], v[6:7], v[18:19]
	s_wait_dscnt 0x0
	v_cmp_neq_f64_e32 vcc_lo, 0, v[2:3]
	v_cmp_neq_f64_e64 s2, 0, v[4:5]
	s_clause 0x1
	s_load_b64 s[10:11], s[0:1], 0x80
	s_load_b128 s[4:7], s[0:1], 0x70
	s_wait_kmcnt 0x0
	s_mul_u64 s[0:1], s[10:11], s[24:25]
	v_fmac_f64_e32 v[10:11], v[6:7], v[20:21]
	v_fmac_f64_e32 v[12:13], v[8:9], v[20:21]
	s_or_b32 s3, vcc_lo, s2
	s_cmp_lg_u32 s8, 1
	s_cselect_b32 s2, -1, 0
	s_and_saveexec_b32 s8, s3
	s_delay_alu instid0(SALU_CYCLE_1)
	s_xor_b32 s3, exec_lo, s8
	s_cbranch_execz .LBB9_18
; %bb.14:
	s_and_b32 vcc_lo, exec_lo, s2
	s_mov_b32 s8, -1
	s_cbranch_vccz .LBB9_16
; %bb.15:
	v_mul_u64_e32 v[0:1], s[6:7], v[14:15]
	s_mov_b32 s8, 0
	s_delay_alu instid0(VALU_DEP_1) | instskip(NEXT) | instid1(VALU_DEP_1)
	v_lshl_add_u64 v[0:1], v[0:1], 4, s[4:5]
	v_lshl_add_u64 v[0:1], v[16:17], 4, v[0:1]
	s_delay_alu instid0(VALU_DEP_1) | instskip(SKIP_4) | instid1(VALU_DEP_2)
	v_lshl_add_u64 v[0:1], s[0:1], 4, v[0:1]
	global_load_b128 v[6:9], v[0:1], off
	s_wait_loadcnt 0x0
	v_fma_f64 v[18:19], v[2:3], v[6:7], v[10:11]
	v_fma_f64 v[20:21], v[4:5], v[6:7], v[12:13]
	v_fma_f64 v[18:19], -v[4:5], v[8:9], v[18:19]
	s_delay_alu instid0(VALU_DEP_2)
	v_fmac_f64_e32 v[20:21], v[2:3], v[8:9]
	global_store_b128 v[0:1], v[18:21], off
.LBB9_16:
	s_and_not1_b32 vcc_lo, exec_lo, s8
	s_cbranch_vccnz .LBB9_18
; %bb.17:
	s_wait_xcnt 0x0
	v_mul_u64_e32 v[0:1], s[6:7], v[16:17]
                                        ; implicit-def: $vgpr16_vgpr17
	s_delay_alu instid0(VALU_DEP_1) | instskip(NEXT) | instid1(VALU_DEP_1)
	v_lshl_add_u64 v[0:1], v[0:1], 4, s[4:5]
	v_lshl_add_u64 v[0:1], v[14:15], 4, v[0:1]
                                        ; implicit-def: $vgpr14_vgpr15
	s_delay_alu instid0(VALU_DEP_1) | instskip(SKIP_4) | instid1(VALU_DEP_2)
	v_lshl_add_u64 v[0:1], s[0:1], 4, v[0:1]
	global_load_b128 v[6:9], v[0:1], off
	s_wait_loadcnt 0x0
	v_fmac_f64_e32 v[10:11], v[2:3], v[6:7]
	v_fmac_f64_e32 v[12:13], v[4:5], v[6:7]
	v_fma_f64 v[10:11], -v[4:5], v[8:9], v[10:11]
	s_delay_alu instid0(VALU_DEP_2)
	v_fmac_f64_e32 v[12:13], v[2:3], v[8:9]
	global_store_b128 v[0:1], v[10:13], off
                                        ; implicit-def: $vgpr10_vgpr11
.LBB9_18:
	s_wait_xcnt 0x0
	s_and_not1_saveexec_b32 s3, s3
	s_cbranch_execz .LBB9_23
; %bb.19:
	s_and_b32 vcc_lo, exec_lo, s2
	s_mov_b32 s2, -1
	s_cbranch_vccz .LBB9_21
; %bb.20:
	v_mul_u64_e32 v[0:1], s[6:7], v[14:15]
	s_mov_b32 s2, 0
	s_delay_alu instid0(VALU_DEP_1) | instskip(NEXT) | instid1(VALU_DEP_1)
	v_lshl_add_u64 v[0:1], v[0:1], 4, s[4:5]
	v_lshl_add_u64 v[0:1], v[16:17], 4, v[0:1]
	s_delay_alu instid0(VALU_DEP_1)
	v_lshl_add_u64 v[0:1], s[0:1], 4, v[0:1]
	global_store_b128 v[0:1], v[10:13], off
.LBB9_21:
	s_and_not1_b32 vcc_lo, exec_lo, s2
	s_cbranch_vccnz .LBB9_23
; %bb.22:
	s_wait_xcnt 0x0
	v_mul_u64_e32 v[0:1], s[6:7], v[16:17]
	s_delay_alu instid0(VALU_DEP_1) | instskip(NEXT) | instid1(VALU_DEP_1)
	v_lshl_add_u64 v[0:1], v[0:1], 4, s[4:5]
	v_lshl_add_u64 v[0:1], v[14:15], 4, v[0:1]
	s_delay_alu instid0(VALU_DEP_1)
	v_lshl_add_u64 v[0:1], s[0:1], 4, v[0:1]
	global_store_b128 v[0:1], v[10:13], off
.LBB9_23:
	s_endpgm
	.section	.rodata,"a",@progbits
	.p2align	6, 0x0
	.amdhsa_kernel _ZN9rocsparse31csrmmnn_row_split_shared_kernelILj256ELj8E21rocsparse_complex_numIdEiiS2_S2_S2_EEvNS_24const_host_device_scalarIT1_EES5_bbbT3_S6_llPKT2_PKS6_PKT4_PKT5_llPT6_ll16rocsparse_order_21rocsparse_index_base_
		.amdhsa_group_segment_fixed_size 5120
		.amdhsa_private_segment_fixed_size 0
		.amdhsa_kernarg_size 144
		.amdhsa_user_sgpr_count 2
		.amdhsa_user_sgpr_dispatch_ptr 0
		.amdhsa_user_sgpr_queue_ptr 0
		.amdhsa_user_sgpr_kernarg_segment_ptr 1
		.amdhsa_user_sgpr_dispatch_id 0
		.amdhsa_user_sgpr_kernarg_preload_length 0
		.amdhsa_user_sgpr_kernarg_preload_offset 0
		.amdhsa_user_sgpr_private_segment_size 0
		.amdhsa_wavefront_size32 1
		.amdhsa_uses_dynamic_stack 0
		.amdhsa_enable_private_segment 0
		.amdhsa_system_sgpr_workgroup_id_x 1
		.amdhsa_system_sgpr_workgroup_id_y 1
		.amdhsa_system_sgpr_workgroup_id_z 1
		.amdhsa_system_sgpr_workgroup_info 0
		.amdhsa_system_vgpr_workitem_id 0
		.amdhsa_next_free_vgpr 64
		.amdhsa_next_free_sgpr 29
		.amdhsa_named_barrier_count 0
		.amdhsa_reserve_vcc 1
		.amdhsa_float_round_mode_32 0
		.amdhsa_float_round_mode_16_64 0
		.amdhsa_float_denorm_mode_32 3
		.amdhsa_float_denorm_mode_16_64 3
		.amdhsa_fp16_overflow 0
		.amdhsa_memory_ordered 1
		.amdhsa_forward_progress 1
		.amdhsa_inst_pref_size 16
		.amdhsa_round_robin_scheduling 0
		.amdhsa_exception_fp_ieee_invalid_op 0
		.amdhsa_exception_fp_denorm_src 0
		.amdhsa_exception_fp_ieee_div_zero 0
		.amdhsa_exception_fp_ieee_overflow 0
		.amdhsa_exception_fp_ieee_underflow 0
		.amdhsa_exception_fp_ieee_inexact 0
		.amdhsa_exception_int_div_zero 0
	.end_amdhsa_kernel
	.section	.text._ZN9rocsparse31csrmmnn_row_split_shared_kernelILj256ELj8E21rocsparse_complex_numIdEiiS2_S2_S2_EEvNS_24const_host_device_scalarIT1_EES5_bbbT3_S6_llPKT2_PKS6_PKT4_PKT5_llPT6_ll16rocsparse_order_21rocsparse_index_base_,"axG",@progbits,_ZN9rocsparse31csrmmnn_row_split_shared_kernelILj256ELj8E21rocsparse_complex_numIdEiiS2_S2_S2_EEvNS_24const_host_device_scalarIT1_EES5_bbbT3_S6_llPKT2_PKS6_PKT4_PKT5_llPT6_ll16rocsparse_order_21rocsparse_index_base_,comdat
.Lfunc_end9:
	.size	_ZN9rocsparse31csrmmnn_row_split_shared_kernelILj256ELj8E21rocsparse_complex_numIdEiiS2_S2_S2_EEvNS_24const_host_device_scalarIT1_EES5_bbbT3_S6_llPKT2_PKS6_PKT4_PKT5_llPT6_ll16rocsparse_order_21rocsparse_index_base_, .Lfunc_end9-_ZN9rocsparse31csrmmnn_row_split_shared_kernelILj256ELj8E21rocsparse_complex_numIdEiiS2_S2_S2_EEvNS_24const_host_device_scalarIT1_EES5_bbbT3_S6_llPKT2_PKS6_PKT4_PKT5_llPT6_ll16rocsparse_order_21rocsparse_index_base_
                                        ; -- End function
	.set _ZN9rocsparse31csrmmnn_row_split_shared_kernelILj256ELj8E21rocsparse_complex_numIdEiiS2_S2_S2_EEvNS_24const_host_device_scalarIT1_EES5_bbbT3_S6_llPKT2_PKS6_PKT4_PKT5_llPT6_ll16rocsparse_order_21rocsparse_index_base_.num_vgpr, 64
	.set _ZN9rocsparse31csrmmnn_row_split_shared_kernelILj256ELj8E21rocsparse_complex_numIdEiiS2_S2_S2_EEvNS_24const_host_device_scalarIT1_EES5_bbbT3_S6_llPKT2_PKS6_PKT4_PKT5_llPT6_ll16rocsparse_order_21rocsparse_index_base_.num_agpr, 0
	.set _ZN9rocsparse31csrmmnn_row_split_shared_kernelILj256ELj8E21rocsparse_complex_numIdEiiS2_S2_S2_EEvNS_24const_host_device_scalarIT1_EES5_bbbT3_S6_llPKT2_PKS6_PKT4_PKT5_llPT6_ll16rocsparse_order_21rocsparse_index_base_.numbered_sgpr, 29
	.set _ZN9rocsparse31csrmmnn_row_split_shared_kernelILj256ELj8E21rocsparse_complex_numIdEiiS2_S2_S2_EEvNS_24const_host_device_scalarIT1_EES5_bbbT3_S6_llPKT2_PKS6_PKT4_PKT5_llPT6_ll16rocsparse_order_21rocsparse_index_base_.num_named_barrier, 0
	.set _ZN9rocsparse31csrmmnn_row_split_shared_kernelILj256ELj8E21rocsparse_complex_numIdEiiS2_S2_S2_EEvNS_24const_host_device_scalarIT1_EES5_bbbT3_S6_llPKT2_PKS6_PKT4_PKT5_llPT6_ll16rocsparse_order_21rocsparse_index_base_.private_seg_size, 0
	.set _ZN9rocsparse31csrmmnn_row_split_shared_kernelILj256ELj8E21rocsparse_complex_numIdEiiS2_S2_S2_EEvNS_24const_host_device_scalarIT1_EES5_bbbT3_S6_llPKT2_PKS6_PKT4_PKT5_llPT6_ll16rocsparse_order_21rocsparse_index_base_.uses_vcc, 1
	.set _ZN9rocsparse31csrmmnn_row_split_shared_kernelILj256ELj8E21rocsparse_complex_numIdEiiS2_S2_S2_EEvNS_24const_host_device_scalarIT1_EES5_bbbT3_S6_llPKT2_PKS6_PKT4_PKT5_llPT6_ll16rocsparse_order_21rocsparse_index_base_.uses_flat_scratch, 0
	.set _ZN9rocsparse31csrmmnn_row_split_shared_kernelILj256ELj8E21rocsparse_complex_numIdEiiS2_S2_S2_EEvNS_24const_host_device_scalarIT1_EES5_bbbT3_S6_llPKT2_PKS6_PKT4_PKT5_llPT6_ll16rocsparse_order_21rocsparse_index_base_.has_dyn_sized_stack, 0
	.set _ZN9rocsparse31csrmmnn_row_split_shared_kernelILj256ELj8E21rocsparse_complex_numIdEiiS2_S2_S2_EEvNS_24const_host_device_scalarIT1_EES5_bbbT3_S6_llPKT2_PKS6_PKT4_PKT5_llPT6_ll16rocsparse_order_21rocsparse_index_base_.has_recursion, 0
	.set _ZN9rocsparse31csrmmnn_row_split_shared_kernelILj256ELj8E21rocsparse_complex_numIdEiiS2_S2_S2_EEvNS_24const_host_device_scalarIT1_EES5_bbbT3_S6_llPKT2_PKS6_PKT4_PKT5_llPT6_ll16rocsparse_order_21rocsparse_index_base_.has_indirect_call, 0
	.section	.AMDGPU.csdata,"",@progbits
; Kernel info:
; codeLenInByte = 1952
; TotalNumSgprs: 31
; NumVgprs: 64
; ScratchSize: 0
; MemoryBound: 0
; FloatMode: 240
; IeeeMode: 1
; LDSByteSize: 5120 bytes/workgroup (compile time only)
; SGPRBlocks: 0
; VGPRBlocks: 3
; NumSGPRsForWavesPerEU: 31
; NumVGPRsForWavesPerEU: 64
; NamedBarCnt: 0
; Occupancy: 16
; WaveLimiterHint : 1
; COMPUTE_PGM_RSRC2:SCRATCH_EN: 0
; COMPUTE_PGM_RSRC2:USER_SGPR: 2
; COMPUTE_PGM_RSRC2:TRAP_HANDLER: 0
; COMPUTE_PGM_RSRC2:TGID_X_EN: 1
; COMPUTE_PGM_RSRC2:TGID_Y_EN: 1
; COMPUTE_PGM_RSRC2:TGID_Z_EN: 1
; COMPUTE_PGM_RSRC2:TIDIG_COMP_CNT: 0
	.section	.text._ZN9rocsparse31csrmmnn_row_split_shared_kernelILj256ELj8E21rocsparse_complex_numIdEliS2_S2_S2_EEvNS_24const_host_device_scalarIT1_EES5_bbbT3_S6_llPKT2_PKS6_PKT4_PKT5_llPT6_ll16rocsparse_order_21rocsparse_index_base_,"axG",@progbits,_ZN9rocsparse31csrmmnn_row_split_shared_kernelILj256ELj8E21rocsparse_complex_numIdEliS2_S2_S2_EEvNS_24const_host_device_scalarIT1_EES5_bbbT3_S6_llPKT2_PKS6_PKT4_PKT5_llPT6_ll16rocsparse_order_21rocsparse_index_base_,comdat
	.protected	_ZN9rocsparse31csrmmnn_row_split_shared_kernelILj256ELj8E21rocsparse_complex_numIdEliS2_S2_S2_EEvNS_24const_host_device_scalarIT1_EES5_bbbT3_S6_llPKT2_PKS6_PKT4_PKT5_llPT6_ll16rocsparse_order_21rocsparse_index_base_ ; -- Begin function _ZN9rocsparse31csrmmnn_row_split_shared_kernelILj256ELj8E21rocsparse_complex_numIdEliS2_S2_S2_EEvNS_24const_host_device_scalarIT1_EES5_bbbT3_S6_llPKT2_PKS6_PKT4_PKT5_llPT6_ll16rocsparse_order_21rocsparse_index_base_
	.globl	_ZN9rocsparse31csrmmnn_row_split_shared_kernelILj256ELj8E21rocsparse_complex_numIdEliS2_S2_S2_EEvNS_24const_host_device_scalarIT1_EES5_bbbT3_S6_llPKT2_PKS6_PKT4_PKT5_llPT6_ll16rocsparse_order_21rocsparse_index_base_
	.p2align	8
	.type	_ZN9rocsparse31csrmmnn_row_split_shared_kernelILj256ELj8E21rocsparse_complex_numIdEliS2_S2_S2_EEvNS_24const_host_device_scalarIT1_EES5_bbbT3_S6_llPKT2_PKS6_PKT4_PKT5_llPT6_ll16rocsparse_order_21rocsparse_index_base_,@function
_ZN9rocsparse31csrmmnn_row_split_shared_kernelILj256ELj8E21rocsparse_complex_numIdEliS2_S2_S2_EEvNS_24const_host_device_scalarIT1_EES5_bbbT3_S6_llPKT2_PKS6_PKT4_PKT5_llPT6_ll16rocsparse_order_21rocsparse_index_base_: ; @_ZN9rocsparse31csrmmnn_row_split_shared_kernelILj256ELj8E21rocsparse_complex_numIdEliS2_S2_S2_EEvNS_24const_host_device_scalarIT1_EES5_bbbT3_S6_llPKT2_PKS6_PKT4_PKT5_llPT6_ll16rocsparse_order_21rocsparse_index_base_
; %bb.0:
	s_clause 0x1
	s_load_b32 s3, s[0:1], 0x20
	s_load_b64 s[4:5], s[0:1], 0x0
	v_mov_b32_e32 v1, 0
	s_load_b64 s[6:7], s[0:1], 0x10
	s_wait_kmcnt 0x0
	s_bitcmp1_b32 s3, 0
	s_cselect_b32 s5, s1, s5
	s_cselect_b32 s4, s0, s4
	flat_load_b128 v[6:9], v1, s[4:5]
	s_wait_xcnt 0x0
	s_add_nc_u64 s[4:5], s[0:1], 16
	s_delay_alu instid0(SALU_CYCLE_1)
	s_cselect_b32 s5, s5, s7
	s_cselect_b32 s4, s4, s6
	flat_load_b128 v[2:5], v1, s[4:5]
	s_wait_loadcnt_dscnt 0x101
	v_cmp_eq_f64_e32 vcc_lo, 0, v[6:7]
	v_cmp_eq_f64_e64 s2, 0, v[8:9]
	s_wait_xcnt 0x0
	s_and_b32 s5, vcc_lo, s2
	s_mov_b32 s2, -1
	s_and_saveexec_b32 s4, s5
	s_cbranch_execz .LBB10_2
; %bb.1:
	s_wait_loadcnt_dscnt 0x0
	v_cmp_neq_f64_e32 vcc_lo, 1.0, v[2:3]
	v_cmp_neq_f64_e64 s2, 0, v[4:5]
	s_or_b32 s2, vcc_lo, s2
	s_delay_alu instid0(SALU_CYCLE_1)
	s_or_not1_b32 s2, s2, exec_lo
.LBB10_2:
	s_or_b32 exec_lo, exec_lo, s4
	s_and_saveexec_b32 s4, s2
	s_cbranch_execz .LBB10_23
; %bb.3:
	s_bfe_u32 s2, ttmp6, 0x4000c
	s_load_b96 s[20:22], s[0:1], 0x20
	s_add_co_i32 s2, s2, 1
	s_and_b32 s4, ttmp6, 15
	s_mul_i32 s5, ttmp9, s2
	s_getreg_b32 s2, hwreg(HW_REG_IB_STS2, 6, 4)
	s_add_co_i32 s4, s4, s5
	s_cmp_eq_u32 s2, 0
	s_mov_b32 s25, 0
	s_cselect_b32 s4, ttmp9, s4
	s_delay_alu instid0(SALU_CYCLE_1) | instskip(NEXT) | instid1(VALU_DEP_1)
	v_lshl_or_b32 v1, s4, 8, v0
	v_lshrrev_b32_e32 v14, 3, v1
	s_wait_kmcnt 0x0
	s_delay_alu instid0(VALU_DEP_1)
	v_cmp_gt_i32_e32 vcc_lo, s21, v14
	s_and_b32 exec_lo, exec_lo, vcc_lo
	s_cbranch_execz .LBB10_23
; %bb.4:
	s_load_b512 s[4:19], s[0:1], 0x30
	s_bfe_u32 s23, ttmp6, 0x40014
	s_bfe_u32 s27, ttmp6, 0x40010
	s_lshr_b32 s21, ttmp7, 16
	s_and_b32 s26, ttmp7, 0xffff
	s_add_co_i32 s23, s23, 1
	s_add_co_i32 s27, s27, 1
	s_bfe_u32 s24, ttmp6, 0x40008
	s_bfe_u32 s28, ttmp6, 0x40004
	s_mul_i32 s23, s21, s23
	s_mul_i32 s27, s26, s27
	s_add_co_i32 s24, s24, s23
	s_add_co_i32 s28, s28, s27
	s_cmp_eq_u32 s2, 0
	v_dual_lshlrev_b32 v1, 3, v14 :: v_dual_bitop2_b32 v18, 7, v0 bitop3:0x40
	s_cselect_b32 s24, s21, s24
	s_cselect_b32 s2, s26, s28
	v_mov_b64_e32 v[20:21], 0
	v_mov_b64_e32 v[30:31], 0
	s_wait_kmcnt 0x0
	s_mul_u64 s[4:5], s[4:5], s[24:25]
	v_lshl_or_b32 v16, s2, 3, v18
	s_lshl_b64 s[4:5], s[4:5], 3
	v_mov_b32_e32 v15, 0
	s_add_nc_u64 s[4:5], s[8:9], s[4:5]
	s_load_b64 s[8:9], s[0:1], 0x88
	global_load_b128 v[10:13], v1, s[4:5]
	v_ashrrev_i32_e32 v17, 31, v16
	s_mov_b32 s21, exec_lo
	s_wait_loadcnt 0x0
	v_cmpx_lt_i64_e64 v[10:11], v[12:13]
	s_cbranch_execz .LBB10_12
; %bb.5:
	v_mad_nc_u64_u32 v[20:21], s6, s24, v[10:11]
	v_mul_u64_e32 v[24:25], s[16:17], v[16:17]
	v_dual_mov_b32 v19, v15 :: v_dual_lshrrev_b32 v22, 3, v0
	s_mov_b32 s5, 0
	s_wait_kmcnt 0x0
	s_mov_b32 s4, s9
	v_mov_b64_e32 v[30:31], 0
	v_sub_nc_u64_e64 v[0:1], v[12:13], s[4:5]
	v_lshl_or_b32 v32, v22, 5, 0x1000
	v_lshlrev_b32_e32 v33, 7, v22
	v_sub_nc_u64_e64 v[22:23], v[10:11], s[4:5]
	v_mad_u32 v21, s7, s24, v21
	s_mul_u64 s[6:7], s[18:19], s[24:25]
	s_bitcmp1_b32 s3, 8
	v_lshl_or_b32 v34, v18, 2, v32
	v_lshl_or_b32 v35, v18, 4, v33
	s_cselect_b32 s2, -1, 0
	s_bitcmp1_b32 s20, 16
	v_cmp_gt_i32_e32 vcc_lo, s22, v16
	s_cselect_b32 s3, -1, 0
	s_delay_alu instid0(VALU_DEP_4) | instskip(NEXT) | instid1(VALU_DEP_1)
	v_add_nc_u64_e32 v[20:21], v[20:21], v[18:19]
	v_sub_nc_u64_e64 v[28:29], v[20:21], s[4:5]
	v_mov_b64_e32 v[20:21], 0
	v_lshl_add_u64 v[10:11], v[24:25], 4, s[14:15]
	s_delay_alu instid0(VALU_DEP_3) | instskip(SKIP_1) | instid1(VALU_DEP_3)
	v_lshl_add_u64 v[12:13], v[28:29], 4, s[12:13]
	v_lshl_add_u64 v[28:29], v[28:29], 2, s[10:11]
	;; [unrolled: 1-line block ×3, first 2 shown]
	s_delay_alu instid0(VALU_DEP_3)
	v_add_nc_u64_e32 v[24:25], 8, v[12:13]
	s_branch .LBB10_7
.LBB10_6:                               ;   in Loop: Header=BB10_7 Depth=1
	s_or_b32 exec_lo, exec_lo, s4
	v_add_nc_u64_e32 v[22:23], 8, v[22:23]
	v_add_nc_u64_e32 v[28:29], 32, v[28:29]
	;; [unrolled: 1-line block ×3, first 2 shown]
	s_delay_alu instid0(VALU_DEP_3) | instskip(SKIP_1) | instid1(SALU_CYCLE_1)
	v_cmp_ge_i64_e64 s4, v[22:23], v[0:1]
	s_or_b32 s5, s4, s5
	s_and_not1_b32 exec_lo, exec_lo, s5
	s_cbranch_execz .LBB10_11
.LBB10_7:                               ; =>This Inner Loop Header: Depth=1
	v_add_nc_u64_e32 v[12:13], v[18:19], v[22:23]
	v_mov_b64_e32 v[10:11], 0
	v_mov_b32_e32 v36, 0
	s_wait_dscnt 0x0
	s_barrier_signal -1
	s_barrier_wait -1
	s_delay_alu instid0(VALU_DEP_3)
	v_cmp_lt_i64_e64 s4, v[12:13], v[0:1]
	v_mov_b64_e32 v[12:13], 0
	s_and_saveexec_b32 s6, s4
	s_cbranch_execz .LBB10_9
; %bb.8:                                ;   in Loop: Header=BB10_7 Depth=1
	global_load_b128 v[10:13], v[24:25], off offset:-8
	global_load_b32 v36, v[28:29], off
	s_wait_loadcnt 0x1
	v_xor_b32_e32 v37, 0x80000000, v13
	s_wait_loadcnt 0x0
	v_subrev_nc_u32_e32 v36, s9, v36
	s_delay_alu instid0(VALU_DEP_2)
	v_cndmask_b32_e64 v13, v13, v37, s2
.LBB10_9:                               ;   in Loop: Header=BB10_7 Depth=1
	s_or_b32 exec_lo, exec_lo, s6
	ds_store_b32 v34, v36
	ds_store_b128 v35, v[10:13]
	s_wait_dscnt 0x0
	s_barrier_signal -1
	s_barrier_wait -1
	s_and_saveexec_b32 s4, vcc_lo
	s_cbranch_execz .LBB10_6
; %bb.10:                               ;   in Loop: Header=BB10_7 Depth=1
	ds_load_b128 v[10:13], v32
	ds_load_b128 v[36:39], v32 offset:16
	ds_load_b128 v[56:59], v33
	s_wait_dscnt 0x2
	v_dual_mov_b32 v40, v10 :: v_dual_ashrrev_i32 v41, 31, v10
	v_dual_mov_b32 v44, v11 :: v_dual_ashrrev_i32 v45, 31, v11
	s_wait_dscnt 0x1
	v_dual_mov_b32 v60, v37 :: v_dual_ashrrev_i32 v61, 31, v37
	s_delay_alu instid0(VALU_DEP_3) | instskip(SKIP_2) | instid1(VALU_DEP_4)
	v_lshl_add_u64 v[40:41], v[40:41], 4, v[26:27]
	v_dual_mov_b32 v52, v36 :: v_dual_ashrrev_i32 v53, 31, v36
	v_lshl_add_u64 v[10:11], v[44:45], 4, v[26:27]
	v_lshl_add_u64 v[36:37], v[60:61], 4, v[26:27]
	global_load_b128 v[40:43], v[40:41], off
	ds_load_b128 v[60:63], v33 offset:16
	v_lshl_add_u64 v[52:53], v[52:53], 4, v[26:27]
	s_clause 0x1
	global_load_b128 v[44:47], v[10:11], off
	global_load_b128 v[64:67], v[36:37], off
	s_wait_xcnt 0x1
	v_dual_mov_b32 v10, v12 :: v_dual_ashrrev_i32 v11, 31, v12
	s_wait_xcnt 0x0
	v_ashrrev_i32_e32 v37, 31, v38
	global_load_b128 v[52:55], v[52:53], off
	v_lshl_add_u64 v[10:11], v[10:11], 4, v[26:27]
	global_load_b128 v[48:51], v[10:11], off
	s_wait_loadcnt_dscnt 0x401
	v_fmac_f64_e32 v[30:31], v[56:57], v[40:41]
	v_fmac_f64_e32 v[20:21], v[58:59], v[40:41]
	v_xor_b32_e32 v36, 0x80000000, v43
	s_delay_alu instid0(VALU_DEP_1) | instskip(NEXT) | instid1(VALU_DEP_1)
	v_dual_cndmask_b32 v43, v43, v36, s3 :: v_dual_mov_b32 v36, v38
	v_lshl_add_u64 v[36:37], v[36:37], 4, v[26:27]
	s_delay_alu instid0(VALU_DEP_2)
	v_fma_f64 v[30:31], -v[58:59], v[42:43], v[30:31]
	v_fmac_f64_e32 v[20:21], v[56:57], v[42:43]
	global_load_b128 v[40:43], v[36:37], off
	s_wait_xcnt 0x1
	v_dual_mov_b32 v10, v13 :: v_dual_ashrrev_i32 v11, 31, v13
	s_wait_loadcnt 0x4
	s_wait_xcnt 0x0
	v_xor_b32_e32 v36, 0x80000000, v47
	v_ashrrev_i32_e32 v37, 31, v39
	v_lshl_add_u64 v[10:11], v[10:11], 4, v[26:27]
	global_load_b128 v[10:13], v[10:11], off
	v_cndmask_b32_e64 v47, v47, v36, s3
	v_mov_b32_e32 v36, v39
	s_delay_alu instid0(VALU_DEP_1)
	v_lshl_add_u64 v[56:57], v[36:37], 4, v[26:27]
	ds_load_b128 v[36:39], v33 offset:48
	global_load_b128 v[56:59], v[56:57], off
	s_wait_dscnt 0x1
	v_fmac_f64_e32 v[30:31], v[60:61], v[44:45]
	v_fmac_f64_e32 v[20:21], v[62:63], v[44:45]
	s_delay_alu instid0(VALU_DEP_2) | instskip(NEXT) | instid1(VALU_DEP_2)
	v_fma_f64 v[30:31], -v[62:63], v[46:47], v[30:31]
	v_fmac_f64_e32 v[20:21], v[60:61], v[46:47]
	ds_load_b128 v[44:47], v33 offset:32
	s_wait_loadcnt_dscnt 0x300
	v_fmac_f64_e32 v[30:31], v[44:45], v[48:49]
	v_fmac_f64_e32 v[20:21], v[46:47], v[48:49]
	v_xor_b32_e32 v48, 0x80000000, v51
	s_delay_alu instid0(VALU_DEP_1) | instskip(NEXT) | instid1(VALU_DEP_1)
	v_cndmask_b32_e64 v51, v51, v48, s3
	v_fma_f64 v[30:31], -v[46:47], v[50:51], v[30:31]
	s_delay_alu instid0(VALU_DEP_4) | instskip(SKIP_1) | instid1(VALU_DEP_1)
	v_fmac_f64_e32 v[20:21], v[44:45], v[50:51]
	v_xor_b32_e32 v44, 0x80000000, v55
	v_cndmask_b32_e64 v55, v55, v44, s3
	s_wait_loadcnt 0x1
	s_delay_alu instid0(VALU_DEP_4) | instskip(NEXT) | instid1(VALU_DEP_4)
	v_fmac_f64_e32 v[30:31], v[36:37], v[10:11]
	v_fmac_f64_e32 v[20:21], v[38:39], v[10:11]
	v_xor_b32_e32 v10, 0x80000000, v13
	s_delay_alu instid0(VALU_DEP_1) | instskip(NEXT) | instid1(VALU_DEP_1)
	v_cndmask_b32_e64 v13, v13, v10, s3
	v_fma_f64 v[30:31], -v[38:39], v[12:13], v[30:31]
	s_delay_alu instid0(VALU_DEP_4)
	v_fmac_f64_e32 v[20:21], v[36:37], v[12:13]
	ds_load_b128 v[10:13], v33 offset:64
	ds_load_b128 v[36:39], v33 offset:80
	s_wait_dscnt 0x1
	v_fmac_f64_e32 v[30:31], v[10:11], v[52:53]
	v_fmac_f64_e32 v[20:21], v[12:13], v[52:53]
	s_delay_alu instid0(VALU_DEP_2) | instskip(NEXT) | instid1(VALU_DEP_2)
	v_fma_f64 v[12:13], -v[12:13], v[54:55], v[30:31]
	v_fmac_f64_e32 v[20:21], v[10:11], v[54:55]
	v_xor_b32_e32 v10, 0x80000000, v67
	s_delay_alu instid0(VALU_DEP_1) | instskip(SKIP_1) | instid1(VALU_DEP_4)
	v_cndmask_b32_e64 v67, v67, v10, s3
	s_wait_dscnt 0x0
	v_fmac_f64_e32 v[12:13], v[36:37], v[64:65]
	s_delay_alu instid0(VALU_DEP_4) | instskip(NEXT) | instid1(VALU_DEP_2)
	v_fmac_f64_e32 v[20:21], v[38:39], v[64:65]
	v_fma_f64 v[30:31], -v[38:39], v[66:67], v[12:13]
	s_delay_alu instid0(VALU_DEP_2)
	v_fmac_f64_e32 v[20:21], v[36:37], v[66:67]
	ds_load_b128 v[10:13], v33 offset:96
	ds_load_b128 v[36:39], v33 offset:112
	s_wait_dscnt 0x1
	v_fmac_f64_e32 v[30:31], v[10:11], v[40:41]
	v_fmac_f64_e32 v[20:21], v[12:13], v[40:41]
	v_xor_b32_e32 v40, 0x80000000, v43
	s_delay_alu instid0(VALU_DEP_1) | instskip(NEXT) | instid1(VALU_DEP_1)
	v_cndmask_b32_e64 v43, v43, v40, s3
	v_fma_f64 v[12:13], -v[12:13], v[42:43], v[30:31]
	s_delay_alu instid0(VALU_DEP_4) | instskip(SKIP_2) | instid1(VALU_DEP_1)
	v_fmac_f64_e32 v[20:21], v[10:11], v[42:43]
	s_wait_loadcnt 0x0
	v_xor_b32_e32 v10, 0x80000000, v59
	v_cndmask_b32_e64 v59, v59, v10, s3
	s_wait_dscnt 0x0
	s_delay_alu instid0(VALU_DEP_4) | instskip(NEXT) | instid1(VALU_DEP_4)
	v_fmac_f64_e32 v[12:13], v[36:37], v[56:57]
	v_fmac_f64_e32 v[20:21], v[38:39], v[56:57]
	s_delay_alu instid0(VALU_DEP_2) | instskip(NEXT) | instid1(VALU_DEP_2)
	v_fma_f64 v[30:31], -v[38:39], v[58:59], v[12:13]
	v_fmac_f64_e32 v[20:21], v[36:37], v[58:59]
	s_branch .LBB10_6
.LBB10_11:
	s_or_b32 exec_lo, exec_lo, s5
.LBB10_12:
	s_delay_alu instid0(SALU_CYCLE_1)
	s_or_b32 exec_lo, exec_lo, s21
	v_cmp_gt_i32_e32 vcc_lo, s22, v16
	s_and_b32 exec_lo, exec_lo, vcc_lo
	s_cbranch_execz .LBB10_23
; %bb.13:
	v_mul_f64_e64 v[10:11], v[20:21], -v[8:9]
	v_mul_f64_e32 v[12:13], v[6:7], v[20:21]
	s_wait_dscnt 0x0
	v_cmp_neq_f64_e32 vcc_lo, 0, v[2:3]
	v_cmp_neq_f64_e64 s2, 0, v[4:5]
	s_clause 0x1
	s_load_b64 s[10:11], s[0:1], 0x80
	s_load_b128 s[4:7], s[0:1], 0x70
	s_wait_kmcnt 0x0
	s_mul_u64 s[0:1], s[10:11], s[24:25]
	v_fmac_f64_e32 v[10:11], v[6:7], v[30:31]
	v_fmac_f64_e32 v[12:13], v[8:9], v[30:31]
	s_or_b32 s3, vcc_lo, s2
	s_cmp_lg_u32 s8, 1
	s_cselect_b32 s2, -1, 0
	s_and_saveexec_b32 s8, s3
	s_delay_alu instid0(SALU_CYCLE_1)
	s_xor_b32 s3, exec_lo, s8
	s_cbranch_execz .LBB10_18
; %bb.14:
	s_and_b32 vcc_lo, exec_lo, s2
	s_mov_b32 s8, -1
	s_cbranch_vccz .LBB10_16
; %bb.15:
	v_mul_u64_e32 v[0:1], s[6:7], v[14:15]
	s_mov_b32 s8, 0
	s_delay_alu instid0(VALU_DEP_1) | instskip(NEXT) | instid1(VALU_DEP_1)
	v_lshl_add_u64 v[0:1], v[0:1], 4, s[4:5]
	v_lshl_add_u64 v[0:1], v[16:17], 4, v[0:1]
	s_delay_alu instid0(VALU_DEP_1) | instskip(SKIP_4) | instid1(VALU_DEP_2)
	v_lshl_add_u64 v[0:1], s[0:1], 4, v[0:1]
	global_load_b128 v[6:9], v[0:1], off
	s_wait_loadcnt 0x0
	v_fma_f64 v[18:19], v[2:3], v[6:7], v[10:11]
	v_fma_f64 v[20:21], v[4:5], v[6:7], v[12:13]
	v_fma_f64 v[18:19], -v[4:5], v[8:9], v[18:19]
	s_delay_alu instid0(VALU_DEP_2)
	v_fmac_f64_e32 v[20:21], v[2:3], v[8:9]
	global_store_b128 v[0:1], v[18:21], off
.LBB10_16:
	s_and_not1_b32 vcc_lo, exec_lo, s8
	s_cbranch_vccnz .LBB10_18
; %bb.17:
	s_wait_xcnt 0x0
	v_mul_u64_e32 v[0:1], s[6:7], v[16:17]
                                        ; implicit-def: $vgpr16_vgpr17
	s_delay_alu instid0(VALU_DEP_1) | instskip(NEXT) | instid1(VALU_DEP_1)
	v_lshl_add_u64 v[0:1], v[0:1], 4, s[4:5]
	v_lshl_add_u64 v[0:1], v[14:15], 4, v[0:1]
                                        ; implicit-def: $vgpr14_vgpr15
	s_delay_alu instid0(VALU_DEP_1) | instskip(SKIP_4) | instid1(VALU_DEP_2)
	v_lshl_add_u64 v[0:1], s[0:1], 4, v[0:1]
	global_load_b128 v[6:9], v[0:1], off
	s_wait_loadcnt 0x0
	v_fmac_f64_e32 v[10:11], v[2:3], v[6:7]
	v_fmac_f64_e32 v[12:13], v[4:5], v[6:7]
	v_fma_f64 v[10:11], -v[4:5], v[8:9], v[10:11]
	s_delay_alu instid0(VALU_DEP_2)
	v_fmac_f64_e32 v[12:13], v[2:3], v[8:9]
	global_store_b128 v[0:1], v[10:13], off
                                        ; implicit-def: $vgpr10_vgpr11
.LBB10_18:
	s_wait_xcnt 0x0
	s_and_not1_saveexec_b32 s3, s3
	s_cbranch_execz .LBB10_23
; %bb.19:
	s_and_b32 vcc_lo, exec_lo, s2
	s_mov_b32 s2, -1
	s_cbranch_vccz .LBB10_21
; %bb.20:
	v_mul_u64_e32 v[0:1], s[6:7], v[14:15]
	s_mov_b32 s2, 0
	s_delay_alu instid0(VALU_DEP_1) | instskip(NEXT) | instid1(VALU_DEP_1)
	v_lshl_add_u64 v[0:1], v[0:1], 4, s[4:5]
	v_lshl_add_u64 v[0:1], v[16:17], 4, v[0:1]
	s_delay_alu instid0(VALU_DEP_1)
	v_lshl_add_u64 v[0:1], s[0:1], 4, v[0:1]
	global_store_b128 v[0:1], v[10:13], off
.LBB10_21:
	s_and_not1_b32 vcc_lo, exec_lo, s2
	s_cbranch_vccnz .LBB10_23
; %bb.22:
	s_wait_xcnt 0x0
	v_mul_u64_e32 v[0:1], s[6:7], v[16:17]
	s_delay_alu instid0(VALU_DEP_1) | instskip(NEXT) | instid1(VALU_DEP_1)
	v_lshl_add_u64 v[0:1], v[0:1], 4, s[4:5]
	v_lshl_add_u64 v[0:1], v[14:15], 4, v[0:1]
	s_delay_alu instid0(VALU_DEP_1)
	v_lshl_add_u64 v[0:1], s[0:1], 4, v[0:1]
	global_store_b128 v[0:1], v[10:13], off
.LBB10_23:
	s_sendmsg sendmsg(MSG_DEALLOC_VGPRS)
	s_endpgm
	.section	.rodata,"a",@progbits
	.p2align	6, 0x0
	.amdhsa_kernel _ZN9rocsparse31csrmmnn_row_split_shared_kernelILj256ELj8E21rocsparse_complex_numIdEliS2_S2_S2_EEvNS_24const_host_device_scalarIT1_EES5_bbbT3_S6_llPKT2_PKS6_PKT4_PKT5_llPT6_ll16rocsparse_order_21rocsparse_index_base_
		.amdhsa_group_segment_fixed_size 5120
		.amdhsa_private_segment_fixed_size 0
		.amdhsa_kernarg_size 144
		.amdhsa_user_sgpr_count 2
		.amdhsa_user_sgpr_dispatch_ptr 0
		.amdhsa_user_sgpr_queue_ptr 0
		.amdhsa_user_sgpr_kernarg_segment_ptr 1
		.amdhsa_user_sgpr_dispatch_id 0
		.amdhsa_user_sgpr_kernarg_preload_length 0
		.amdhsa_user_sgpr_kernarg_preload_offset 0
		.amdhsa_user_sgpr_private_segment_size 0
		.amdhsa_wavefront_size32 1
		.amdhsa_uses_dynamic_stack 0
		.amdhsa_enable_private_segment 0
		.amdhsa_system_sgpr_workgroup_id_x 1
		.amdhsa_system_sgpr_workgroup_id_y 1
		.amdhsa_system_sgpr_workgroup_id_z 1
		.amdhsa_system_sgpr_workgroup_info 0
		.amdhsa_system_vgpr_workitem_id 0
		.amdhsa_next_free_vgpr 68
		.amdhsa_next_free_sgpr 29
		.amdhsa_named_barrier_count 0
		.amdhsa_reserve_vcc 1
		.amdhsa_float_round_mode_32 0
		.amdhsa_float_round_mode_16_64 0
		.amdhsa_float_denorm_mode_32 3
		.amdhsa_float_denorm_mode_16_64 3
		.amdhsa_fp16_overflow 0
		.amdhsa_memory_ordered 1
		.amdhsa_forward_progress 1
		.amdhsa_inst_pref_size 16
		.amdhsa_round_robin_scheduling 0
		.amdhsa_exception_fp_ieee_invalid_op 0
		.amdhsa_exception_fp_denorm_src 0
		.amdhsa_exception_fp_ieee_div_zero 0
		.amdhsa_exception_fp_ieee_overflow 0
		.amdhsa_exception_fp_ieee_underflow 0
		.amdhsa_exception_fp_ieee_inexact 0
		.amdhsa_exception_int_div_zero 0
	.end_amdhsa_kernel
	.section	.text._ZN9rocsparse31csrmmnn_row_split_shared_kernelILj256ELj8E21rocsparse_complex_numIdEliS2_S2_S2_EEvNS_24const_host_device_scalarIT1_EES5_bbbT3_S6_llPKT2_PKS6_PKT4_PKT5_llPT6_ll16rocsparse_order_21rocsparse_index_base_,"axG",@progbits,_ZN9rocsparse31csrmmnn_row_split_shared_kernelILj256ELj8E21rocsparse_complex_numIdEliS2_S2_S2_EEvNS_24const_host_device_scalarIT1_EES5_bbbT3_S6_llPKT2_PKS6_PKT4_PKT5_llPT6_ll16rocsparse_order_21rocsparse_index_base_,comdat
.Lfunc_end10:
	.size	_ZN9rocsparse31csrmmnn_row_split_shared_kernelILj256ELj8E21rocsparse_complex_numIdEliS2_S2_S2_EEvNS_24const_host_device_scalarIT1_EES5_bbbT3_S6_llPKT2_PKS6_PKT4_PKT5_llPT6_ll16rocsparse_order_21rocsparse_index_base_, .Lfunc_end10-_ZN9rocsparse31csrmmnn_row_split_shared_kernelILj256ELj8E21rocsparse_complex_numIdEliS2_S2_S2_EEvNS_24const_host_device_scalarIT1_EES5_bbbT3_S6_llPKT2_PKS6_PKT4_PKT5_llPT6_ll16rocsparse_order_21rocsparse_index_base_
                                        ; -- End function
	.set _ZN9rocsparse31csrmmnn_row_split_shared_kernelILj256ELj8E21rocsparse_complex_numIdEliS2_S2_S2_EEvNS_24const_host_device_scalarIT1_EES5_bbbT3_S6_llPKT2_PKS6_PKT4_PKT5_llPT6_ll16rocsparse_order_21rocsparse_index_base_.num_vgpr, 68
	.set _ZN9rocsparse31csrmmnn_row_split_shared_kernelILj256ELj8E21rocsparse_complex_numIdEliS2_S2_S2_EEvNS_24const_host_device_scalarIT1_EES5_bbbT3_S6_llPKT2_PKS6_PKT4_PKT5_llPT6_ll16rocsparse_order_21rocsparse_index_base_.num_agpr, 0
	.set _ZN9rocsparse31csrmmnn_row_split_shared_kernelILj256ELj8E21rocsparse_complex_numIdEliS2_S2_S2_EEvNS_24const_host_device_scalarIT1_EES5_bbbT3_S6_llPKT2_PKS6_PKT4_PKT5_llPT6_ll16rocsparse_order_21rocsparse_index_base_.numbered_sgpr, 29
	.set _ZN9rocsparse31csrmmnn_row_split_shared_kernelILj256ELj8E21rocsparse_complex_numIdEliS2_S2_S2_EEvNS_24const_host_device_scalarIT1_EES5_bbbT3_S6_llPKT2_PKS6_PKT4_PKT5_llPT6_ll16rocsparse_order_21rocsparse_index_base_.num_named_barrier, 0
	.set _ZN9rocsparse31csrmmnn_row_split_shared_kernelILj256ELj8E21rocsparse_complex_numIdEliS2_S2_S2_EEvNS_24const_host_device_scalarIT1_EES5_bbbT3_S6_llPKT2_PKS6_PKT4_PKT5_llPT6_ll16rocsparse_order_21rocsparse_index_base_.private_seg_size, 0
	.set _ZN9rocsparse31csrmmnn_row_split_shared_kernelILj256ELj8E21rocsparse_complex_numIdEliS2_S2_S2_EEvNS_24const_host_device_scalarIT1_EES5_bbbT3_S6_llPKT2_PKS6_PKT4_PKT5_llPT6_ll16rocsparse_order_21rocsparse_index_base_.uses_vcc, 1
	.set _ZN9rocsparse31csrmmnn_row_split_shared_kernelILj256ELj8E21rocsparse_complex_numIdEliS2_S2_S2_EEvNS_24const_host_device_scalarIT1_EES5_bbbT3_S6_llPKT2_PKS6_PKT4_PKT5_llPT6_ll16rocsparse_order_21rocsparse_index_base_.uses_flat_scratch, 0
	.set _ZN9rocsparse31csrmmnn_row_split_shared_kernelILj256ELj8E21rocsparse_complex_numIdEliS2_S2_S2_EEvNS_24const_host_device_scalarIT1_EES5_bbbT3_S6_llPKT2_PKS6_PKT4_PKT5_llPT6_ll16rocsparse_order_21rocsparse_index_base_.has_dyn_sized_stack, 0
	.set _ZN9rocsparse31csrmmnn_row_split_shared_kernelILj256ELj8E21rocsparse_complex_numIdEliS2_S2_S2_EEvNS_24const_host_device_scalarIT1_EES5_bbbT3_S6_llPKT2_PKS6_PKT4_PKT5_llPT6_ll16rocsparse_order_21rocsparse_index_base_.has_recursion, 0
	.set _ZN9rocsparse31csrmmnn_row_split_shared_kernelILj256ELj8E21rocsparse_complex_numIdEliS2_S2_S2_EEvNS_24const_host_device_scalarIT1_EES5_bbbT3_S6_llPKT2_PKS6_PKT4_PKT5_llPT6_ll16rocsparse_order_21rocsparse_index_base_.has_indirect_call, 0
	.section	.AMDGPU.csdata,"",@progbits
; Kernel info:
; codeLenInByte = 2012
; TotalNumSgprs: 31
; NumVgprs: 68
; ScratchSize: 0
; MemoryBound: 1
; FloatMode: 240
; IeeeMode: 1
; LDSByteSize: 5120 bytes/workgroup (compile time only)
; SGPRBlocks: 0
; VGPRBlocks: 4
; NumSGPRsForWavesPerEU: 31
; NumVGPRsForWavesPerEU: 68
; NamedBarCnt: 0
; Occupancy: 12
; WaveLimiterHint : 1
; COMPUTE_PGM_RSRC2:SCRATCH_EN: 0
; COMPUTE_PGM_RSRC2:USER_SGPR: 2
; COMPUTE_PGM_RSRC2:TRAP_HANDLER: 0
; COMPUTE_PGM_RSRC2:TGID_X_EN: 1
; COMPUTE_PGM_RSRC2:TGID_Y_EN: 1
; COMPUTE_PGM_RSRC2:TGID_Z_EN: 1
; COMPUTE_PGM_RSRC2:TIDIG_COMP_CNT: 0
	.section	.text._ZN9rocsparse31csrmmnn_row_split_shared_kernelILj256ELj8E21rocsparse_complex_numIdEllS2_S2_S2_EEvNS_24const_host_device_scalarIT1_EES5_bbbT3_S6_llPKT2_PKS6_PKT4_PKT5_llPT6_ll16rocsparse_order_21rocsparse_index_base_,"axG",@progbits,_ZN9rocsparse31csrmmnn_row_split_shared_kernelILj256ELj8E21rocsparse_complex_numIdEllS2_S2_S2_EEvNS_24const_host_device_scalarIT1_EES5_bbbT3_S6_llPKT2_PKS6_PKT4_PKT5_llPT6_ll16rocsparse_order_21rocsparse_index_base_,comdat
	.protected	_ZN9rocsparse31csrmmnn_row_split_shared_kernelILj256ELj8E21rocsparse_complex_numIdEllS2_S2_S2_EEvNS_24const_host_device_scalarIT1_EES5_bbbT3_S6_llPKT2_PKS6_PKT4_PKT5_llPT6_ll16rocsparse_order_21rocsparse_index_base_ ; -- Begin function _ZN9rocsparse31csrmmnn_row_split_shared_kernelILj256ELj8E21rocsparse_complex_numIdEllS2_S2_S2_EEvNS_24const_host_device_scalarIT1_EES5_bbbT3_S6_llPKT2_PKS6_PKT4_PKT5_llPT6_ll16rocsparse_order_21rocsparse_index_base_
	.globl	_ZN9rocsparse31csrmmnn_row_split_shared_kernelILj256ELj8E21rocsparse_complex_numIdEllS2_S2_S2_EEvNS_24const_host_device_scalarIT1_EES5_bbbT3_S6_llPKT2_PKS6_PKT4_PKT5_llPT6_ll16rocsparse_order_21rocsparse_index_base_
	.p2align	8
	.type	_ZN9rocsparse31csrmmnn_row_split_shared_kernelILj256ELj8E21rocsparse_complex_numIdEllS2_S2_S2_EEvNS_24const_host_device_scalarIT1_EES5_bbbT3_S6_llPKT2_PKS6_PKT4_PKT5_llPT6_ll16rocsparse_order_21rocsparse_index_base_,@function
_ZN9rocsparse31csrmmnn_row_split_shared_kernelILj256ELj8E21rocsparse_complex_numIdEllS2_S2_S2_EEvNS_24const_host_device_scalarIT1_EES5_bbbT3_S6_llPKT2_PKS6_PKT4_PKT5_llPT6_ll16rocsparse_order_21rocsparse_index_base_: ; @_ZN9rocsparse31csrmmnn_row_split_shared_kernelILj256ELj8E21rocsparse_complex_numIdEllS2_S2_S2_EEvNS_24const_host_device_scalarIT1_EES5_bbbT3_S6_llPKT2_PKS6_PKT4_PKT5_llPT6_ll16rocsparse_order_21rocsparse_index_base_
; %bb.0:
	s_clause 0x1
	s_load_b32 s33, s[0:1], 0x20
	s_load_b64 s[2:3], s[0:1], 0x0
	v_mov_b32_e32 v1, 0
	s_load_b64 s[4:5], s[0:1], 0x10
	s_wait_kmcnt 0x0
	s_bitcmp1_b32 s33, 0
	s_cselect_b32 s3, s1, s3
	s_cselect_b32 s2, s0, s2
	flat_load_b128 v[6:9], v1, s[2:3]
	s_wait_xcnt 0x0
	s_add_nc_u64 s[2:3], s[0:1], 16
	s_delay_alu instid0(SALU_CYCLE_1)
	s_cselect_b32 s3, s3, s5
	s_cselect_b32 s2, s2, s4
	flat_load_b128 v[2:5], v1, s[2:3]
	s_wait_loadcnt_dscnt 0x101
	v_cmp_eq_f64_e32 vcc_lo, 0, v[6:7]
	s_wait_xcnt 0x0
	v_cmp_eq_f64_e64 s2, 0, v[8:9]
	s_and_b32 s4, vcc_lo, s2
	s_mov_b32 s2, -1
	s_and_saveexec_b32 s3, s4
	s_cbranch_execz .LBB11_2
; %bb.1:
	s_wait_loadcnt_dscnt 0x0
	v_cmp_neq_f64_e32 vcc_lo, 1.0, v[2:3]
	v_cmp_neq_f64_e64 s2, 0, v[4:5]
	s_or_b32 s2, vcc_lo, s2
	s_delay_alu instid0(SALU_CYCLE_1)
	s_or_not1_b32 s2, s2, exec_lo
.LBB11_2:
	s_or_b32 exec_lo, exec_lo, s3
	s_and_saveexec_b32 s3, s2
	s_cbranch_execz .LBB11_23
; %bb.3:
	s_bfe_u32 s2, ttmp6, 0x4000c
	s_load_b512 s[4:19], s[0:1], 0x28
	s_add_co_i32 s2, s2, 1
	s_and_b32 s3, ttmp6, 15
	s_mul_i32 s20, ttmp9, s2
	s_getreg_b32 s2, hwreg(HW_REG_IB_STS2, 6, 4)
	s_add_co_i32 s3, s3, s20
	s_cmp_eq_u32 s2, 0
	v_mov_b32_e32 v15, 0
	s_cselect_b32 s3, ttmp9, s3
	s_delay_alu instid0(SALU_CYCLE_1) | instskip(NEXT) | instid1(VALU_DEP_1)
	v_lshl_or_b32 v1, s3, 8, v0
	v_lshrrev_b32_e32 v14, 3, v1
	s_wait_kmcnt 0x0
	s_delay_alu instid0(VALU_DEP_1)
	v_cmp_gt_i64_e32 vcc_lo, s[4:5], v[14:15]
	s_mov_b32 s5, 0
	s_and_b32 exec_lo, exec_lo, vcc_lo
	s_cbranch_execz .LBB11_23
; %bb.4:
	s_bfe_u32 s3, ttmp6, 0x40014
	s_bfe_u32 s20, ttmp6, 0x40010
	s_lshr_b32 s4, ttmp7, 16
	s_add_co_i32 s3, s3, 1
	s_and_b32 s21, ttmp7, 0xffff
	s_add_co_i32 s20, s20, 1
	s_mul_i32 s3, s4, s3
	s_bfe_u32 s22, ttmp6, 0x40008
	s_mul_i32 s20, s21, s20
	s_bfe_u32 s23, ttmp6, 0x40004
	s_add_co_i32 s22, s22, s3
	s_add_co_i32 s23, s23, s20
	s_cmp_eq_u32 s2, 0
	v_dual_lshlrev_b32 v1, 3, v14 :: v_dual_bitop2_b32 v18, 7, v0 bitop3:0x40
	s_cselect_b32 s4, s4, s22
	s_cselect_b32 s34, s21, s23
	s_mul_u64 s[2:3], s[8:9], s[4:5]
	v_mov_b64_e32 v[20:21], 0
	s_lshl_b64 s[2:3], s[2:3], 3
	v_mov_b64_e32 v[30:31], 0
	s_add_nc_u64 s[2:3], s[12:13], s[2:3]
	v_lshl_or_b32 v16, s34, 3, v18
	global_load_b128 v[10:13], v1, s[2:3]
	s_clause 0x1
	s_load_b256 s[20:27], s[0:1], 0x68
	s_load_b128 s[28:31], s[0:1], 0x88
	v_mov_b32_e32 v17, v15
	s_mov_b32 s3, exec_lo
	s_wait_loadcnt 0x0
	v_cmpx_lt_i64_e64 v[10:11], v[12:13]
	s_cbranch_execz .LBB11_12
; %bb.5:
	v_mad_nc_u64_u32 v[20:21], s10, s4, v[10:11]
	s_wait_kmcnt 0x0
	v_mul_u64_e32 v[24:25], s[20:21], v[16:17]
	v_dual_mov_b32 v19, 0 :: v_dual_lshrrev_b32 v22, 3, v0
	s_mov_b32 s9, 0
	s_mov_b32 s8, s31
	v_mov_b64_e32 v[30:31], 0
	v_sub_nc_u64_e64 v[0:1], v[12:13], s[8:9]
	v_lshl_or_b32 v34, v22, 6, 0x1000
	v_lshlrev_b32_e32 v35, 7, v22
	v_sub_nc_u64_e64 v[22:23], v[10:11], s[8:9]
	v_mad_u32 v21, s11, s4, v21
	s_mul_u64 s[10:11], s[22:23], s[4:5]
	s_bitcmp1_b32 s33, 8
	v_lshl_or_b32 v36, v18, 3, v34
	v_lshl_or_b32 v37, v18, 4, v35
	s_cselect_b32 s0, -1, 0
	s_bitcmp1_b32 s33, 16
	v_cmp_gt_i64_e32 vcc_lo, s[6:7], v[16:17]
	s_cselect_b32 s1, -1, 0
	s_delay_alu instid0(VALU_DEP_4) | instskip(NEXT) | instid1(VALU_DEP_1)
	v_add_nc_u64_e32 v[20:21], v[20:21], v[18:19]
	v_sub_nc_u64_e64 v[28:29], v[20:21], s[8:9]
	v_mov_b64_e32 v[20:21], 0
	v_lshl_add_u64 v[10:11], v[24:25], 4, s[18:19]
	s_delay_alu instid0(VALU_DEP_3) | instskip(SKIP_1) | instid1(VALU_DEP_3)
	v_lshl_add_u64 v[12:13], v[28:29], 4, s[16:17]
	v_lshl_add_u64 v[28:29], v[28:29], 3, s[14:15]
	;; [unrolled: 1-line block ×3, first 2 shown]
	s_mov_b32 s10, s9
	s_delay_alu instid0(VALU_DEP_3)
	v_add_nc_u64_e32 v[24:25], 8, v[12:13]
	s_branch .LBB11_7
.LBB11_6:                               ;   in Loop: Header=BB11_7 Depth=1
	s_or_b32 exec_lo, exec_lo, s2
	v_add_nc_u64_e32 v[22:23], 8, v[22:23]
	v_add_nc_u64_e32 v[28:29], 64, v[28:29]
	;; [unrolled: 1-line block ×3, first 2 shown]
	s_delay_alu instid0(VALU_DEP_3) | instskip(SKIP_1) | instid1(SALU_CYCLE_1)
	v_cmp_ge_i64_e64 s2, v[22:23], v[0:1]
	s_or_b32 s10, s2, s10
	s_and_not1_b32 exec_lo, exec_lo, s10
	s_cbranch_execz .LBB11_11
.LBB11_7:                               ; =>This Inner Loop Header: Depth=1
	v_add_nc_u64_e32 v[12:13], v[18:19], v[22:23]
	v_mov_b64_e32 v[32:33], 0
	v_mov_b64_e32 v[10:11], 0
	s_wait_dscnt 0x0
	s_barrier_signal -1
	s_barrier_wait -1
	s_delay_alu instid0(VALU_DEP_3)
	v_cmp_lt_i64_e64 s2, v[12:13], v[0:1]
	v_mov_b64_e32 v[12:13], 0
	s_and_saveexec_b32 s11, s2
	s_cbranch_execz .LBB11_9
; %bb.8:                                ;   in Loop: Header=BB11_7 Depth=1
	global_load_b128 v[10:13], v[24:25], off offset:-8
	global_load_b64 v[32:33], v[28:29], off
	s_wait_loadcnt 0x1
	v_xor_b32_e32 v38, 0x80000000, v13
	s_wait_loadcnt 0x0
	v_sub_nc_u64_e64 v[32:33], v[32:33], s[8:9]
	s_delay_alu instid0(VALU_DEP_2)
	v_cndmask_b32_e64 v13, v13, v38, s0
.LBB11_9:                               ;   in Loop: Header=BB11_7 Depth=1
	s_or_b32 exec_lo, exec_lo, s11
	ds_store_b64 v36, v[32:33]
	ds_store_b128 v37, v[10:13]
	s_wait_dscnt 0x0
	s_barrier_signal -1
	s_barrier_wait -1
	s_and_saveexec_b32 s2, vcc_lo
	s_cbranch_execz .LBB11_6
; %bb.10:                               ;   in Loop: Header=BB11_7 Depth=1
	ds_load_b128 v[10:13], v34
	ds_load_b128 v[38:41], v34 offset:16
	s_wait_dscnt 0x1
	v_lshl_add_u64 v[10:11], v[10:11], 4, v[26:27]
	s_wait_dscnt 0x0
	v_lshl_add_u64 v[32:33], v[38:39], 4, v[26:27]
	s_clause 0x1
	global_load_b128 v[42:45], v[10:11], off
	global_load_b128 v[46:49], v[32:33], off
	s_wait_xcnt 0x1
	v_lshl_add_u64 v[10:11], v[12:13], 4, v[26:27]
	s_wait_xcnt 0x0
	v_lshl_add_u64 v[32:33], v[40:41], 4, v[26:27]
	s_clause 0x1
	global_load_b128 v[10:13], v[10:11], off
	global_load_b128 v[38:41], v[32:33], off
	ds_load_b128 v[50:53], v34 offset:32
	ds_load_b128 v[54:57], v34 offset:48
	ds_load_b128 v[62:65], v35
	s_wait_dscnt 0x2
	s_wait_xcnt 0x0
	v_lshl_add_u64 v[32:33], v[50:51], 4, v[26:27]
	global_load_b128 v[58:61], v[32:33], off
	s_wait_xcnt 0x0
	v_lshl_add_u64 v[32:33], v[52:53], 4, v[26:27]
	ds_load_b128 v[50:53], v35 offset:16
	global_load_b128 v[66:69], v[32:33], off
	s_wait_loadcnt_dscnt 0x501
	v_fmac_f64_e32 v[30:31], v[62:63], v[42:43]
	v_fmac_f64_e32 v[20:21], v[64:65], v[42:43]
	s_wait_xcnt 0x0
	v_xor_b32_e32 v32, 0x80000000, v45
	s_delay_alu instid0(VALU_DEP_1) | instskip(NEXT) | instid1(VALU_DEP_1)
	v_cndmask_b32_e64 v45, v45, v32, s1
	v_fma_f64 v[42:43], -v[64:65], v[44:45], v[30:31]
	s_delay_alu instid0(VALU_DEP_4)
	v_fmac_f64_e32 v[20:21], v[62:63], v[44:45]
	v_lshl_add_u64 v[30:31], v[54:55], 4, v[26:27]
	global_load_b128 v[30:33], v[30:31], off
	s_wait_loadcnt_dscnt 0x400
	v_fmac_f64_e32 v[42:43], v[50:51], v[10:11]
	v_fmac_f64_e32 v[20:21], v[52:53], v[10:11]
	v_xor_b32_e32 v10, 0x80000000, v13
	s_delay_alu instid0(VALU_DEP_1) | instskip(NEXT) | instid1(VALU_DEP_1)
	v_cndmask_b32_e64 v13, v13, v10, s1
	v_fma_f64 v[54:55], -v[52:53], v[12:13], v[42:43]
	s_delay_alu instid0(VALU_DEP_4)
	v_fmac_f64_e32 v[20:21], v[50:51], v[12:13]
	ds_load_b128 v[10:13], v35 offset:32
	ds_load_b128 v[42:45], v35 offset:48
	v_lshl_add_u64 v[50:51], v[56:57], 4, v[26:27]
	global_load_b128 v[50:53], v[50:51], off
	s_wait_dscnt 0x1
	v_fmac_f64_e32 v[54:55], v[10:11], v[46:47]
	v_fmac_f64_e32 v[20:21], v[12:13], v[46:47]
	v_xor_b32_e32 v46, 0x80000000, v49
	s_delay_alu instid0(VALU_DEP_1) | instskip(NEXT) | instid1(VALU_DEP_1)
	v_cndmask_b32_e64 v49, v49, v46, s1
	v_fma_f64 v[12:13], -v[12:13], v[48:49], v[54:55]
	s_delay_alu instid0(VALU_DEP_4) | instskip(SKIP_2) | instid1(VALU_DEP_1)
	v_fmac_f64_e32 v[20:21], v[10:11], v[48:49]
	s_wait_loadcnt 0x4
	v_xor_b32_e32 v10, 0x80000000, v41
	v_cndmask_b32_e64 v41, v41, v10, s1
	s_wait_dscnt 0x0
	s_delay_alu instid0(VALU_DEP_4) | instskip(NEXT) | instid1(VALU_DEP_4)
	v_fmac_f64_e32 v[12:13], v[42:43], v[38:39]
	v_fmac_f64_e32 v[20:21], v[44:45], v[38:39]
	s_delay_alu instid0(VALU_DEP_2) | instskip(NEXT) | instid1(VALU_DEP_2)
	v_fma_f64 v[44:45], -v[44:45], v[40:41], v[12:13]
	v_fmac_f64_e32 v[20:21], v[42:43], v[40:41]
	ds_load_b128 v[10:13], v35 offset:64
	ds_load_b128 v[38:41], v35 offset:80
	s_wait_loadcnt 0x3
	v_xor_b32_e32 v42, 0x80000000, v61
	s_delay_alu instid0(VALU_DEP_1) | instskip(SKIP_3) | instid1(VALU_DEP_2)
	v_cndmask_b32_e64 v61, v61, v42, s1
	s_wait_dscnt 0x1
	v_fmac_f64_e32 v[44:45], v[10:11], v[58:59]
	v_fmac_f64_e32 v[20:21], v[12:13], v[58:59]
	v_fma_f64 v[12:13], -v[12:13], v[60:61], v[44:45]
	s_delay_alu instid0(VALU_DEP_2) | instskip(SKIP_2) | instid1(VALU_DEP_1)
	v_fmac_f64_e32 v[20:21], v[10:11], v[60:61]
	s_wait_loadcnt 0x2
	v_xor_b32_e32 v10, 0x80000000, v69
	v_cndmask_b32_e64 v69, v69, v10, s1
	s_wait_dscnt 0x0
	s_delay_alu instid0(VALU_DEP_4) | instskip(NEXT) | instid1(VALU_DEP_4)
	v_fmac_f64_e32 v[12:13], v[38:39], v[66:67]
	v_fmac_f64_e32 v[20:21], v[40:41], v[66:67]
	s_delay_alu instid0(VALU_DEP_2) | instskip(NEXT) | instid1(VALU_DEP_2)
	v_fma_f64 v[42:43], -v[40:41], v[68:69], v[12:13]
	v_fmac_f64_e32 v[20:21], v[38:39], v[68:69]
	ds_load_b128 v[10:13], v35 offset:96
	ds_load_b128 v[38:41], v35 offset:112
	s_wait_loadcnt_dscnt 0x101
	v_fmac_f64_e32 v[42:43], v[10:11], v[30:31]
	v_fmac_f64_e32 v[20:21], v[12:13], v[30:31]
	v_xor_b32_e32 v30, 0x80000000, v33
	s_delay_alu instid0(VALU_DEP_1) | instskip(NEXT) | instid1(VALU_DEP_1)
	v_cndmask_b32_e64 v33, v33, v30, s1
	v_fma_f64 v[12:13], -v[12:13], v[32:33], v[42:43]
	s_delay_alu instid0(VALU_DEP_4) | instskip(SKIP_2) | instid1(VALU_DEP_1)
	v_fmac_f64_e32 v[20:21], v[10:11], v[32:33]
	s_wait_loadcnt 0x0
	v_xor_b32_e32 v10, 0x80000000, v53
	v_cndmask_b32_e64 v53, v53, v10, s1
	s_wait_dscnt 0x0
	s_delay_alu instid0(VALU_DEP_4) | instskip(NEXT) | instid1(VALU_DEP_4)
	v_fmac_f64_e32 v[12:13], v[38:39], v[50:51]
	v_fmac_f64_e32 v[20:21], v[40:41], v[50:51]
	s_delay_alu instid0(VALU_DEP_2) | instskip(NEXT) | instid1(VALU_DEP_2)
	v_fma_f64 v[30:31], -v[40:41], v[52:53], v[12:13]
	v_fmac_f64_e32 v[20:21], v[38:39], v[52:53]
	s_branch .LBB11_6
.LBB11_11:
	s_or_b32 exec_lo, exec_lo, s10
.LBB11_12:
	s_delay_alu instid0(SALU_CYCLE_1)
	s_or_b32 exec_lo, exec_lo, s3
	v_cmp_gt_i64_e32 vcc_lo, s[6:7], v[16:17]
	s_and_b32 exec_lo, exec_lo, vcc_lo
	s_cbranch_execz .LBB11_23
; %bb.13:
	v_mul_f64_e64 v[10:11], v[20:21], -v[8:9]
	v_mul_f64_e32 v[12:13], v[6:7], v[20:21]
	s_wait_dscnt 0x0
	v_cmp_neq_f64_e32 vcc_lo, 0, v[2:3]
	s_wait_xcnt 0x0
	v_cmp_neq_f64_e64 s0, 0, v[4:5]
	s_delay_alu instid0(VALU_DEP_4) | instskip(NEXT) | instid1(VALU_DEP_4)
	v_fmac_f64_e32 v[10:11], v[6:7], v[30:31]
	v_fmac_f64_e32 v[12:13], v[8:9], v[30:31]
	s_or_b32 s3, vcc_lo, s0
	s_wait_kmcnt 0x0
	s_cmp_lg_u32 s30, 1
	s_mul_u64 s[0:1], s[28:29], s[4:5]
	s_cselect_b32 s2, -1, 0
	s_and_saveexec_b32 s4, s3
	s_delay_alu instid0(SALU_CYCLE_1)
	s_xor_b32 s3, exec_lo, s4
	s_cbranch_execz .LBB11_18
; %bb.14:
	s_and_b32 vcc_lo, exec_lo, s2
	s_mov_b32 s4, -1
	s_cbranch_vccz .LBB11_16
; %bb.15:
	v_mul_u64_e32 v[0:1], s[26:27], v[14:15]
	s_mov_b32 s4, 0
	s_delay_alu instid0(VALU_DEP_1) | instskip(NEXT) | instid1(VALU_DEP_1)
	v_lshl_add_u64 v[0:1], v[0:1], 4, s[24:25]
	v_lshl_add_u64 v[0:1], v[16:17], 4, v[0:1]
	s_delay_alu instid0(VALU_DEP_1) | instskip(SKIP_4) | instid1(VALU_DEP_2)
	v_lshl_add_u64 v[0:1], s[0:1], 4, v[0:1]
	global_load_b128 v[6:9], v[0:1], off
	s_wait_loadcnt 0x0
	v_fma_f64 v[18:19], v[2:3], v[6:7], v[10:11]
	v_fma_f64 v[20:21], v[4:5], v[6:7], v[12:13]
	v_fma_f64 v[18:19], -v[4:5], v[8:9], v[18:19]
	s_delay_alu instid0(VALU_DEP_2)
	v_fmac_f64_e32 v[20:21], v[2:3], v[8:9]
	global_store_b128 v[0:1], v[18:21], off
.LBB11_16:
	s_and_not1_b32 vcc_lo, exec_lo, s4
	s_cbranch_vccnz .LBB11_18
; %bb.17:
	s_wait_xcnt 0x0
	v_mul_u64_e32 v[0:1], s[26:27], v[16:17]
                                        ; implicit-def: $vgpr16_vgpr17
	s_delay_alu instid0(VALU_DEP_1) | instskip(NEXT) | instid1(VALU_DEP_1)
	v_lshl_add_u64 v[0:1], v[0:1], 4, s[24:25]
	v_lshl_add_u64 v[0:1], v[14:15], 4, v[0:1]
                                        ; implicit-def: $vgpr14_vgpr15
	s_delay_alu instid0(VALU_DEP_1) | instskip(SKIP_4) | instid1(VALU_DEP_2)
	v_lshl_add_u64 v[0:1], s[0:1], 4, v[0:1]
	global_load_b128 v[6:9], v[0:1], off
	s_wait_loadcnt 0x0
	v_fmac_f64_e32 v[10:11], v[2:3], v[6:7]
	v_fmac_f64_e32 v[12:13], v[4:5], v[6:7]
	v_fma_f64 v[10:11], -v[4:5], v[8:9], v[10:11]
	s_delay_alu instid0(VALU_DEP_2)
	v_fmac_f64_e32 v[12:13], v[2:3], v[8:9]
	global_store_b128 v[0:1], v[10:13], off
                                        ; implicit-def: $vgpr10_vgpr11
.LBB11_18:
	s_wait_xcnt 0x0
	s_and_not1_saveexec_b32 s3, s3
	s_cbranch_execz .LBB11_23
; %bb.19:
	s_and_b32 vcc_lo, exec_lo, s2
	s_mov_b32 s2, -1
	s_cbranch_vccz .LBB11_21
; %bb.20:
	v_mul_u64_e32 v[0:1], s[26:27], v[14:15]
	s_mov_b32 s2, 0
	s_delay_alu instid0(VALU_DEP_1) | instskip(NEXT) | instid1(VALU_DEP_1)
	v_lshl_add_u64 v[0:1], v[0:1], 4, s[24:25]
	v_lshl_add_u64 v[0:1], v[16:17], 4, v[0:1]
	s_delay_alu instid0(VALU_DEP_1)
	v_lshl_add_u64 v[0:1], s[0:1], 4, v[0:1]
	global_store_b128 v[0:1], v[10:13], off
.LBB11_21:
	s_and_not1_b32 vcc_lo, exec_lo, s2
	s_cbranch_vccnz .LBB11_23
; %bb.22:
	s_wait_xcnt 0x0
	v_mul_u64_e32 v[0:1], s[26:27], v[16:17]
	s_delay_alu instid0(VALU_DEP_1) | instskip(NEXT) | instid1(VALU_DEP_1)
	v_lshl_add_u64 v[0:1], v[0:1], 4, s[24:25]
	v_lshl_add_u64 v[0:1], v[14:15], 4, v[0:1]
	s_delay_alu instid0(VALU_DEP_1)
	v_lshl_add_u64 v[0:1], s[0:1], 4, v[0:1]
	global_store_b128 v[0:1], v[10:13], off
.LBB11_23:
	s_sendmsg sendmsg(MSG_DEALLOC_VGPRS)
	s_endpgm
	.section	.rodata,"a",@progbits
	.p2align	6, 0x0
	.amdhsa_kernel _ZN9rocsparse31csrmmnn_row_split_shared_kernelILj256ELj8E21rocsparse_complex_numIdEllS2_S2_S2_EEvNS_24const_host_device_scalarIT1_EES5_bbbT3_S6_llPKT2_PKS6_PKT4_PKT5_llPT6_ll16rocsparse_order_21rocsparse_index_base_
		.amdhsa_group_segment_fixed_size 6144
		.amdhsa_private_segment_fixed_size 0
		.amdhsa_kernarg_size 152
		.amdhsa_user_sgpr_count 2
		.amdhsa_user_sgpr_dispatch_ptr 0
		.amdhsa_user_sgpr_queue_ptr 0
		.amdhsa_user_sgpr_kernarg_segment_ptr 1
		.amdhsa_user_sgpr_dispatch_id 0
		.amdhsa_user_sgpr_kernarg_preload_length 0
		.amdhsa_user_sgpr_kernarg_preload_offset 0
		.amdhsa_user_sgpr_private_segment_size 0
		.amdhsa_wavefront_size32 1
		.amdhsa_uses_dynamic_stack 0
		.amdhsa_enable_private_segment 0
		.amdhsa_system_sgpr_workgroup_id_x 1
		.amdhsa_system_sgpr_workgroup_id_y 1
		.amdhsa_system_sgpr_workgroup_id_z 1
		.amdhsa_system_sgpr_workgroup_info 0
		.amdhsa_system_vgpr_workitem_id 0
		.amdhsa_next_free_vgpr 70
		.amdhsa_next_free_sgpr 35
		.amdhsa_named_barrier_count 0
		.amdhsa_reserve_vcc 1
		.amdhsa_float_round_mode_32 0
		.amdhsa_float_round_mode_16_64 0
		.amdhsa_float_denorm_mode_32 3
		.amdhsa_float_denorm_mode_16_64 3
		.amdhsa_fp16_overflow 0
		.amdhsa_memory_ordered 1
		.amdhsa_forward_progress 1
		.amdhsa_inst_pref_size 16
		.amdhsa_round_robin_scheduling 0
		.amdhsa_exception_fp_ieee_invalid_op 0
		.amdhsa_exception_fp_denorm_src 0
		.amdhsa_exception_fp_ieee_div_zero 0
		.amdhsa_exception_fp_ieee_overflow 0
		.amdhsa_exception_fp_ieee_underflow 0
		.amdhsa_exception_fp_ieee_inexact 0
		.amdhsa_exception_int_div_zero 0
	.end_amdhsa_kernel
	.section	.text._ZN9rocsparse31csrmmnn_row_split_shared_kernelILj256ELj8E21rocsparse_complex_numIdEllS2_S2_S2_EEvNS_24const_host_device_scalarIT1_EES5_bbbT3_S6_llPKT2_PKS6_PKT4_PKT5_llPT6_ll16rocsparse_order_21rocsparse_index_base_,"axG",@progbits,_ZN9rocsparse31csrmmnn_row_split_shared_kernelILj256ELj8E21rocsparse_complex_numIdEllS2_S2_S2_EEvNS_24const_host_device_scalarIT1_EES5_bbbT3_S6_llPKT2_PKS6_PKT4_PKT5_llPT6_ll16rocsparse_order_21rocsparse_index_base_,comdat
.Lfunc_end11:
	.size	_ZN9rocsparse31csrmmnn_row_split_shared_kernelILj256ELj8E21rocsparse_complex_numIdEllS2_S2_S2_EEvNS_24const_host_device_scalarIT1_EES5_bbbT3_S6_llPKT2_PKS6_PKT4_PKT5_llPT6_ll16rocsparse_order_21rocsparse_index_base_, .Lfunc_end11-_ZN9rocsparse31csrmmnn_row_split_shared_kernelILj256ELj8E21rocsparse_complex_numIdEllS2_S2_S2_EEvNS_24const_host_device_scalarIT1_EES5_bbbT3_S6_llPKT2_PKS6_PKT4_PKT5_llPT6_ll16rocsparse_order_21rocsparse_index_base_
                                        ; -- End function
	.set _ZN9rocsparse31csrmmnn_row_split_shared_kernelILj256ELj8E21rocsparse_complex_numIdEllS2_S2_S2_EEvNS_24const_host_device_scalarIT1_EES5_bbbT3_S6_llPKT2_PKS6_PKT4_PKT5_llPT6_ll16rocsparse_order_21rocsparse_index_base_.num_vgpr, 70
	.set _ZN9rocsparse31csrmmnn_row_split_shared_kernelILj256ELj8E21rocsparse_complex_numIdEllS2_S2_S2_EEvNS_24const_host_device_scalarIT1_EES5_bbbT3_S6_llPKT2_PKS6_PKT4_PKT5_llPT6_ll16rocsparse_order_21rocsparse_index_base_.num_agpr, 0
	.set _ZN9rocsparse31csrmmnn_row_split_shared_kernelILj256ELj8E21rocsparse_complex_numIdEllS2_S2_S2_EEvNS_24const_host_device_scalarIT1_EES5_bbbT3_S6_llPKT2_PKS6_PKT4_PKT5_llPT6_ll16rocsparse_order_21rocsparse_index_base_.numbered_sgpr, 35
	.set _ZN9rocsparse31csrmmnn_row_split_shared_kernelILj256ELj8E21rocsparse_complex_numIdEllS2_S2_S2_EEvNS_24const_host_device_scalarIT1_EES5_bbbT3_S6_llPKT2_PKS6_PKT4_PKT5_llPT6_ll16rocsparse_order_21rocsparse_index_base_.num_named_barrier, 0
	.set _ZN9rocsparse31csrmmnn_row_split_shared_kernelILj256ELj8E21rocsparse_complex_numIdEllS2_S2_S2_EEvNS_24const_host_device_scalarIT1_EES5_bbbT3_S6_llPKT2_PKS6_PKT4_PKT5_llPT6_ll16rocsparse_order_21rocsparse_index_base_.private_seg_size, 0
	.set _ZN9rocsparse31csrmmnn_row_split_shared_kernelILj256ELj8E21rocsparse_complex_numIdEllS2_S2_S2_EEvNS_24const_host_device_scalarIT1_EES5_bbbT3_S6_llPKT2_PKS6_PKT4_PKT5_llPT6_ll16rocsparse_order_21rocsparse_index_base_.uses_vcc, 1
	.set _ZN9rocsparse31csrmmnn_row_split_shared_kernelILj256ELj8E21rocsparse_complex_numIdEllS2_S2_S2_EEvNS_24const_host_device_scalarIT1_EES5_bbbT3_S6_llPKT2_PKS6_PKT4_PKT5_llPT6_ll16rocsparse_order_21rocsparse_index_base_.uses_flat_scratch, 0
	.set _ZN9rocsparse31csrmmnn_row_split_shared_kernelILj256ELj8E21rocsparse_complex_numIdEllS2_S2_S2_EEvNS_24const_host_device_scalarIT1_EES5_bbbT3_S6_llPKT2_PKS6_PKT4_PKT5_llPT6_ll16rocsparse_order_21rocsparse_index_base_.has_dyn_sized_stack, 0
	.set _ZN9rocsparse31csrmmnn_row_split_shared_kernelILj256ELj8E21rocsparse_complex_numIdEllS2_S2_S2_EEvNS_24const_host_device_scalarIT1_EES5_bbbT3_S6_llPKT2_PKS6_PKT4_PKT5_llPT6_ll16rocsparse_order_21rocsparse_index_base_.has_recursion, 0
	.set _ZN9rocsparse31csrmmnn_row_split_shared_kernelILj256ELj8E21rocsparse_complex_numIdEllS2_S2_S2_EEvNS_24const_host_device_scalarIT1_EES5_bbbT3_S6_llPKT2_PKS6_PKT4_PKT5_llPT6_ll16rocsparse_order_21rocsparse_index_base_.has_indirect_call, 0
	.section	.AMDGPU.csdata,"",@progbits
; Kernel info:
; codeLenInByte = 1972
; TotalNumSgprs: 37
; NumVgprs: 70
; ScratchSize: 0
; MemoryBound: 1
; FloatMode: 240
; IeeeMode: 1
; LDSByteSize: 6144 bytes/workgroup (compile time only)
; SGPRBlocks: 0
; VGPRBlocks: 4
; NumSGPRsForWavesPerEU: 37
; NumVGPRsForWavesPerEU: 70
; NamedBarCnt: 0
; Occupancy: 12
; WaveLimiterHint : 0
; COMPUTE_PGM_RSRC2:SCRATCH_EN: 0
; COMPUTE_PGM_RSRC2:USER_SGPR: 2
; COMPUTE_PGM_RSRC2:TRAP_HANDLER: 0
; COMPUTE_PGM_RSRC2:TGID_X_EN: 1
; COMPUTE_PGM_RSRC2:TGID_Y_EN: 1
; COMPUTE_PGM_RSRC2:TGID_Z_EN: 1
; COMPUTE_PGM_RSRC2:TIDIG_COMP_CNT: 0
	.section	.text._ZN9rocsparse31csrmmnn_row_split_shared_kernelILj256ELj8EfiiDF16_DF16_fEEvNS_24const_host_device_scalarIT1_EES3_bbbT3_S4_llPKT2_PKS4_PKT4_PKT5_llPT6_ll16rocsparse_order_21rocsparse_index_base_,"axG",@progbits,_ZN9rocsparse31csrmmnn_row_split_shared_kernelILj256ELj8EfiiDF16_DF16_fEEvNS_24const_host_device_scalarIT1_EES3_bbbT3_S4_llPKT2_PKS4_PKT4_PKT5_llPT6_ll16rocsparse_order_21rocsparse_index_base_,comdat
	.protected	_ZN9rocsparse31csrmmnn_row_split_shared_kernelILj256ELj8EfiiDF16_DF16_fEEvNS_24const_host_device_scalarIT1_EES3_bbbT3_S4_llPKT2_PKS4_PKT4_PKT5_llPT6_ll16rocsparse_order_21rocsparse_index_base_ ; -- Begin function _ZN9rocsparse31csrmmnn_row_split_shared_kernelILj256ELj8EfiiDF16_DF16_fEEvNS_24const_host_device_scalarIT1_EES3_bbbT3_S4_llPKT2_PKS4_PKT4_PKT5_llPT6_ll16rocsparse_order_21rocsparse_index_base_
	.globl	_ZN9rocsparse31csrmmnn_row_split_shared_kernelILj256ELj8EfiiDF16_DF16_fEEvNS_24const_host_device_scalarIT1_EES3_bbbT3_S4_llPKT2_PKS4_PKT4_PKT5_llPT6_ll16rocsparse_order_21rocsparse_index_base_
	.p2align	8
	.type	_ZN9rocsparse31csrmmnn_row_split_shared_kernelILj256ELj8EfiiDF16_DF16_fEEvNS_24const_host_device_scalarIT1_EES3_bbbT3_S4_llPKT2_PKS4_PKT4_PKT5_llPT6_ll16rocsparse_order_21rocsparse_index_base_,@function
_ZN9rocsparse31csrmmnn_row_split_shared_kernelILj256ELj8EfiiDF16_DF16_fEEvNS_24const_host_device_scalarIT1_EES3_bbbT3_S4_llPKT2_PKS4_PKT4_PKT5_llPT6_ll16rocsparse_order_21rocsparse_index_base_: ; @_ZN9rocsparse31csrmmnn_row_split_shared_kernelILj256ELj8EfiiDF16_DF16_fEEvNS_24const_host_device_scalarIT1_EES3_bbbT3_S4_llPKT2_PKS4_PKT4_PKT5_llPT6_ll16rocsparse_order_21rocsparse_index_base_
; %bb.0:
	s_clause 0x1
	s_load_b96 s[24:26], s[0:1], 0x10
	s_load_b128 s[20:23], s[0:1], 0x0
	s_wait_kmcnt 0x0
	s_bitcmp1_b32 s24, 0
	s_cselect_b32 s2, -1, 0
	s_delay_alu instid0(SALU_CYCLE_1)
	s_and_b32 vcc_lo, exec_lo, s2
	s_xor_b32 s2, s2, -1
	s_cbranch_vccnz .LBB12_2
; %bb.1:
	s_load_b32 s20, s[20:21], 0x0
.LBB12_2:
	s_and_not1_b32 vcc_lo, exec_lo, s2
	s_cbranch_vccnz .LBB12_4
; %bb.3:
	s_load_b32 s22, s[22:23], 0x0
.LBB12_4:
	s_wait_kmcnt 0x0
	s_cmp_eq_f32 s20, 0
	s_cselect_b32 s2, -1, 0
	s_cmp_eq_f32 s22, 1.0
	s_cselect_b32 s3, -1, 0
	s_delay_alu instid0(SALU_CYCLE_1) | instskip(NEXT) | instid1(SALU_CYCLE_1)
	s_and_b32 s2, s2, s3
	s_and_b32 vcc_lo, exec_lo, s2
	s_cbranch_vccnz .LBB12_21
; %bb.5:
	s_bfe_u32 s2, ttmp6, 0x4000c
	s_and_b32 s3, ttmp6, 15
	s_add_co_i32 s2, s2, 1
	s_delay_alu instid0(SALU_CYCLE_1) | instskip(SKIP_4) | instid1(SALU_CYCLE_1)
	s_mul_i32 s4, ttmp9, s2
	s_getreg_b32 s2, hwreg(HW_REG_IB_STS2, 6, 4)
	s_add_co_i32 s3, s3, s4
	s_cmp_eq_u32 s2, 0
	s_cselect_b32 s3, ttmp9, s3
	v_lshl_or_b32 v1, s3, 8, v0
	s_mov_b32 s3, exec_lo
	s_delay_alu instid0(VALU_DEP_1) | instskip(NEXT) | instid1(VALU_DEP_1)
	v_lshrrev_b32_e32 v2, 3, v1
	v_cmpx_gt_i32_e64 s25, v2
	s_cbranch_execz .LBB12_21
; %bb.6:
	s_load_b512 s[4:19], s[0:1], 0x20
	s_bfe_u32 s21, ttmp6, 0x40014
	s_bfe_u32 s24, ttmp6, 0x40010
	s_lshr_b32 s3, ttmp7, 16
	s_and_b32 s27, ttmp7, 0xffff
	s_add_co_i32 s21, s21, 1
	s_add_co_i32 s24, s24, 1
	s_bfe_u32 s23, ttmp6, 0x40008
	s_bfe_u32 s25, ttmp6, 0x40004
	s_mul_i32 s21, s3, s21
	s_mul_i32 s24, s27, s24
	s_add_co_i32 s23, s23, s21
	s_add_co_i32 s21, s25, s24
	s_cmp_eq_u32 s2, 0
	s_mov_b32 s25, 0
	s_cselect_b32 s24, s3, s23
	v_dual_lshlrev_b32 v1, 2, v2 :: v_dual_bitop2_b32 v8, 7, v0 bitop3:0x40
	s_wait_kmcnt 0x0
	s_mul_u64 s[2:3], s[4:5], s[24:25]
	s_cselect_b32 s4, s27, s21
	s_lshl_b64 s[2:3], s[2:3], 2
	v_lshl_or_b32 v4, s4, 3, v8
	s_add_nc_u64 s[2:3], s[8:9], s[2:3]
	s_load_b64 s[8:9], s[0:1], 0x78
	global_load_b64 v[6:7], v1, s[2:3]
	v_dual_mov_b32 v3, 0 :: v_dual_ashrrev_i32 v5, 31, v4
	s_wait_xcnt 0x0
	s_mov_b32 s3, exec_lo
	s_delay_alu instid0(VALU_DEP_1)
	v_mov_b32_e32 v9, v3
	s_wait_loadcnt 0x0
	v_cmpx_lt_i32_e64 v6, v7
	s_cbranch_execz .LBB12_14
; %bb.7:
	v_mul_u64_e32 v[14:15], s[16:17], v[4:5]
	s_wait_kmcnt 0x0
	v_subrev_nc_u32_e32 v12, s9, v6
	v_dual_mov_b32 v9, 0 :: v_dual_lshlrev_b32 v6, 2, v8
	v_lshlrev_b32_e32 v0, 2, v0
	s_mul_u64 s[4:5], s[18:19], s[24:25]
	v_subrev_nc_u32_e32 v11, s9, v7
	v_cmp_gt_i32_e32 vcc_lo, s26, v4
	s_delay_alu instid0(VALU_DEP_3) | instskip(NEXT) | instid1(VALU_DEP_1)
	v_and_b32_e32 v10, 0x3e0, v0
	v_or_b32_e32 v13, 0x400, v10
	v_lshl_add_u64 v[0:1], v[14:15], 1, s[14:15]
	v_or_b32_e32 v14, v10, v6
	s_delay_alu instid0(VALU_DEP_3) | instskip(NEXT) | instid1(VALU_DEP_3)
	v_or_b32_e32 v15, v13, v6
	v_lshl_add_u64 v[0:1], s[4:5], 1, v[0:1]
	s_mul_u64 s[4:5], s[6:7], s[24:25]
	s_mov_b32 s6, s25
	s_branch .LBB12_9
.LBB12_8:                               ;   in Loop: Header=BB12_9 Depth=1
	s_or_b32 exec_lo, exec_lo, s2
	v_add_nc_u32_e32 v12, 8, v12
	s_delay_alu instid0(VALU_DEP_1) | instskip(SKIP_1) | instid1(SALU_CYCLE_1)
	v_cmp_ge_i32_e64 s2, v12, v11
	s_or_b32 s6, s2, s6
	s_and_not1_b32 exec_lo, exec_lo, s6
	s_cbranch_execz .LBB12_13
.LBB12_9:                               ; =>This Inner Loop Header: Depth=1
	v_dual_mov_b32 v7, 0 :: v_dual_add_nc_u32 v6, v8, v12
	v_mov_b32_e32 v16, 0
	s_mov_b32 s7, exec_lo
	s_barrier_signal -1
	s_barrier_wait -1
	v_cmpx_lt_i32_e64 v6, v11
	s_cbranch_execz .LBB12_11
; %bb.10:                               ;   in Loop: Header=BB12_9 Depth=1
	v_ashrrev_i32_e32 v7, 31, v6
	s_delay_alu instid0(VALU_DEP_1) | instskip(NEXT) | instid1(VALU_DEP_1)
	v_add_nc_u64_e32 v[6:7], s[4:5], v[6:7]
	v_lshl_add_u64 v[16:17], v[6:7], 2, s[10:11]
	v_lshl_add_u64 v[6:7], v[6:7], 1, s[12:13]
	global_load_b32 v18, v[16:17], off
	global_load_u16 v19, v[6:7], off
	s_wait_loadcnt 0x1
	s_wait_xcnt 0x0
	v_subrev_nc_u32_e32 v7, s9, v18
	s_wait_loadcnt 0x0
	v_cvt_f32_f16_e32 v16, v19
.LBB12_11:                              ;   in Loop: Header=BB12_9 Depth=1
	s_or_b32 exec_lo, exec_lo, s7
	ds_store_b32 v14, v7
	ds_store_b32 v15, v16
	s_wait_dscnt 0x0
	s_barrier_signal -1
	s_barrier_wait -1
	s_and_saveexec_b32 s2, vcc_lo
	s_cbranch_execz .LBB12_8
; %bb.12:                               ;   in Loop: Header=BB12_9 Depth=1
	ds_load_b128 v[16:19], v10
	ds_load_b128 v[20:23], v10 offset:16
	s_wait_dscnt 0x1
	v_dual_mov_b32 v6, v16 :: v_dual_ashrrev_i32 v7, 31, v16
	v_dual_mov_b32 v24, v17 :: v_dual_ashrrev_i32 v25, 31, v17
	;; [unrolled: 1-line block ×3, first 2 shown]
	s_delay_alu instid0(VALU_DEP_3) | instskip(SKIP_2) | instid1(VALU_DEP_3)
	v_lshl_add_u64 v[6:7], v[6:7], 1, v[0:1]
	s_wait_dscnt 0x0
	v_mov_b32_e32 v18, v21
	v_lshl_add_u64 v[16:17], v[16:17], 1, v[0:1]
	global_load_u16 v26, v[6:7], off
	s_wait_xcnt 0x0
	v_lshl_add_u64 v[6:7], v[24:25], 1, v[0:1]
	v_dual_mov_b32 v24, v19 :: v_dual_ashrrev_i32 v25, 31, v19
	s_clause 0x1
	global_load_u16 v27, v[6:7], off
	global_load_u16 v28, v[16:17], off
	s_wait_xcnt 0x0
	v_dual_mov_b32 v16, v20 :: v_dual_ashrrev_i32 v17, 31, v20
	v_lshl_add_u64 v[6:7], v[24:25], 1, v[0:1]
	v_ashrrev_i32_e32 v19, 31, v21
	global_load_u16 v24, v[6:7], off
	s_wait_xcnt 0x0
	v_lshl_add_u64 v[6:7], v[16:17], 1, v[0:1]
	v_lshl_add_u64 v[16:17], v[18:19], 1, v[0:1]
	v_dual_mov_b32 v18, v22 :: v_dual_ashrrev_i32 v19, 31, v22
	s_clause 0x1
	global_load_u16 v25, v[6:7], off
	global_load_u16 v29, v[16:17], off
	s_wait_xcnt 0x1
	v_dual_mov_b32 v6, v23 :: v_dual_ashrrev_i32 v7, 31, v23
	s_wait_xcnt 0x0
	v_lshl_add_u64 v[16:17], v[18:19], 1, v[0:1]
	s_delay_alu instid0(VALU_DEP_2)
	v_lshl_add_u64 v[6:7], v[6:7], 1, v[0:1]
	s_clause 0x1
	global_load_u16 v30, v[16:17], off
	global_load_u16 v31, v[6:7], off
	s_wait_xcnt 0x1
	ds_load_b128 v[16:19], v13
	ds_load_b128 v[20:23], v13 offset:16
	s_wait_loadcnt_dscnt 0x701
	s_wait_xcnt 0x0
	v_fma_mix_f32 v6, v16, v26, v9 op_sel_hi:[0,1,0]
	s_wait_loadcnt 0x6
	s_delay_alu instid0(VALU_DEP_1) | instskip(SKIP_1) | instid1(VALU_DEP_1)
	v_fma_mix_f32 v6, v17, v27, v6 op_sel_hi:[0,1,0]
	s_wait_loadcnt 0x5
	v_fma_mix_f32 v6, v18, v28, v6 op_sel_hi:[0,1,0]
	s_wait_loadcnt 0x4
	s_delay_alu instid0(VALU_DEP_1) | instskip(SKIP_1) | instid1(VALU_DEP_1)
	v_fma_mix_f32 v6, v19, v24, v6 op_sel_hi:[0,1,0]
	s_wait_loadcnt_dscnt 0x300
	v_fma_mix_f32 v6, v20, v25, v6 op_sel_hi:[0,1,0]
	s_wait_loadcnt 0x2
	s_delay_alu instid0(VALU_DEP_1) | instskip(SKIP_1) | instid1(VALU_DEP_1)
	v_fma_mix_f32 v6, v21, v29, v6 op_sel_hi:[0,1,0]
	s_wait_loadcnt 0x1
	v_fma_mix_f32 v6, v22, v30, v6 op_sel_hi:[0,1,0]
	s_wait_loadcnt 0x0
	s_delay_alu instid0(VALU_DEP_1)
	v_fma_mix_f32 v9, v23, v31, v6 op_sel_hi:[0,1,0]
	s_branch .LBB12_8
.LBB12_13:
	s_or_b32 exec_lo, exec_lo, s6
.LBB12_14:
	s_delay_alu instid0(SALU_CYCLE_1)
	s_or_b32 exec_lo, exec_lo, s3
	v_cmp_gt_i32_e32 vcc_lo, s26, v4
	s_and_b32 exec_lo, exec_lo, vcc_lo
	s_cbranch_execz .LBB12_21
; %bb.15:
	s_clause 0x1
	s_load_b64 s[10:11], s[0:1], 0x70
	s_load_b128 s[4:7], s[0:1], 0x60
	s_wait_kmcnt 0x0
	s_cmp_lg_u32 s8, 1
	v_mul_f32_e32 v0, s20, v9
	s_cselect_b32 s2, -1, 0
	s_cmp_neq_f32 s22, 0
	s_mul_u64 s[0:1], s[10:11], s[24:25]
	s_cbranch_scc0 .LBB12_22
; %bb.16:
	s_and_b32 vcc_lo, exec_lo, s2
	s_mov_b32 s3, -1
	s_cbranch_vccz .LBB12_18
; %bb.17:
	v_mul_u64_e32 v[6:7], s[6:7], v[2:3]
	s_mov_b32 s3, 0
	s_delay_alu instid0(VALU_DEP_1) | instskip(NEXT) | instid1(VALU_DEP_1)
	v_lshl_add_u64 v[6:7], v[6:7], 2, s[4:5]
	v_lshl_add_u64 v[6:7], v[4:5], 2, v[6:7]
	s_delay_alu instid0(VALU_DEP_1)
	v_lshl_add_u64 v[6:7], s[0:1], 2, v[6:7]
	global_load_b32 v1, v[6:7], off
	s_wait_loadcnt 0x0
	v_fma_f32 v1, s22, v1, v0
	global_store_b32 v[6:7], v1, off
.LBB12_18:
	s_and_not1_b32 vcc_lo, exec_lo, s3
	s_cbranch_vccnz .LBB12_20
; %bb.19:
	s_wait_xcnt 0x0
	v_mul_u64_e32 v[6:7], s[6:7], v[4:5]
	v_dual_mov_b32 v9, 0 :: v_dual_lshlrev_b32 v8, 2, v2
	s_delay_alu instid0(VALU_DEP_2) | instskip(NEXT) | instid1(VALU_DEP_1)
	v_lshl_add_u64 v[6:7], v[6:7], 2, s[4:5]
	v_add_nc_u64_e32 v[6:7], v[6:7], v[8:9]
	s_delay_alu instid0(VALU_DEP_1)
	v_lshl_add_u64 v[6:7], s[0:1], 2, v[6:7]
	global_load_b32 v1, v[6:7], off
	s_wait_loadcnt 0x0
	v_fma_f32 v1, s22, v1, v0
	global_store_b32 v[6:7], v1, off
.LBB12_20:
	s_cbranch_execz .LBB12_23
.LBB12_21:
	s_endpgm
.LBB12_22:
.LBB12_23:
	s_and_b32 vcc_lo, exec_lo, s2
	s_mov_b32 s2, -1
	s_cbranch_vccz .LBB12_25
; %bb.24:
	s_wait_xcnt 0x0
	v_mul_u64_e32 v[6:7], s[6:7], v[2:3]
	s_mov_b32 s2, 0
	s_delay_alu instid0(VALU_DEP_1) | instskip(NEXT) | instid1(VALU_DEP_1)
	v_lshl_add_u64 v[6:7], v[6:7], 2, s[4:5]
	v_lshl_add_u64 v[6:7], v[4:5], 2, v[6:7]
	s_delay_alu instid0(VALU_DEP_1)
	v_lshl_add_u64 v[6:7], s[0:1], 2, v[6:7]
	global_store_b32 v[6:7], v0, off
.LBB12_25:
	s_and_not1_b32 vcc_lo, exec_lo, s2
	s_cbranch_vccnz .LBB12_21
; %bb.26:
	v_mul_u64_e32 v[4:5], s[6:7], v[4:5]
	v_dual_mov_b32 v3, 0 :: v_dual_lshlrev_b32 v2, 2, v2
	s_delay_alu instid0(VALU_DEP_2) | instskip(NEXT) | instid1(VALU_DEP_1)
	v_lshl_add_u64 v[4:5], v[4:5], 2, s[4:5]
	v_add_nc_u64_e32 v[2:3], v[4:5], v[2:3]
	s_delay_alu instid0(VALU_DEP_1)
	v_lshl_add_u64 v[2:3], s[0:1], 2, v[2:3]
	global_store_b32 v[2:3], v0, off
	s_endpgm
	.section	.rodata,"a",@progbits
	.p2align	6, 0x0
	.amdhsa_kernel _ZN9rocsparse31csrmmnn_row_split_shared_kernelILj256ELj8EfiiDF16_DF16_fEEvNS_24const_host_device_scalarIT1_EES3_bbbT3_S4_llPKT2_PKS4_PKT4_PKT5_llPT6_ll16rocsparse_order_21rocsparse_index_base_
		.amdhsa_group_segment_fixed_size 2048
		.amdhsa_private_segment_fixed_size 0
		.amdhsa_kernarg_size 128
		.amdhsa_user_sgpr_count 2
		.amdhsa_user_sgpr_dispatch_ptr 0
		.amdhsa_user_sgpr_queue_ptr 0
		.amdhsa_user_sgpr_kernarg_segment_ptr 1
		.amdhsa_user_sgpr_dispatch_id 0
		.amdhsa_user_sgpr_kernarg_preload_length 0
		.amdhsa_user_sgpr_kernarg_preload_offset 0
		.amdhsa_user_sgpr_private_segment_size 0
		.amdhsa_wavefront_size32 1
		.amdhsa_uses_dynamic_stack 0
		.amdhsa_enable_private_segment 0
		.amdhsa_system_sgpr_workgroup_id_x 1
		.amdhsa_system_sgpr_workgroup_id_y 1
		.amdhsa_system_sgpr_workgroup_id_z 1
		.amdhsa_system_sgpr_workgroup_info 0
		.amdhsa_system_vgpr_workitem_id 0
		.amdhsa_next_free_vgpr 32
		.amdhsa_next_free_sgpr 28
		.amdhsa_named_barrier_count 0
		.amdhsa_reserve_vcc 1
		.amdhsa_float_round_mode_32 0
		.amdhsa_float_round_mode_16_64 0
		.amdhsa_float_denorm_mode_32 3
		.amdhsa_float_denorm_mode_16_64 3
		.amdhsa_fp16_overflow 0
		.amdhsa_memory_ordered 1
		.amdhsa_forward_progress 1
		.amdhsa_inst_pref_size 12
		.amdhsa_round_robin_scheduling 0
		.amdhsa_exception_fp_ieee_invalid_op 0
		.amdhsa_exception_fp_denorm_src 0
		.amdhsa_exception_fp_ieee_div_zero 0
		.amdhsa_exception_fp_ieee_overflow 0
		.amdhsa_exception_fp_ieee_underflow 0
		.amdhsa_exception_fp_ieee_inexact 0
		.amdhsa_exception_int_div_zero 0
	.end_amdhsa_kernel
	.section	.text._ZN9rocsparse31csrmmnn_row_split_shared_kernelILj256ELj8EfiiDF16_DF16_fEEvNS_24const_host_device_scalarIT1_EES3_bbbT3_S4_llPKT2_PKS4_PKT4_PKT5_llPT6_ll16rocsparse_order_21rocsparse_index_base_,"axG",@progbits,_ZN9rocsparse31csrmmnn_row_split_shared_kernelILj256ELj8EfiiDF16_DF16_fEEvNS_24const_host_device_scalarIT1_EES3_bbbT3_S4_llPKT2_PKS4_PKT4_PKT5_llPT6_ll16rocsparse_order_21rocsparse_index_base_,comdat
.Lfunc_end12:
	.size	_ZN9rocsparse31csrmmnn_row_split_shared_kernelILj256ELj8EfiiDF16_DF16_fEEvNS_24const_host_device_scalarIT1_EES3_bbbT3_S4_llPKT2_PKS4_PKT4_PKT5_llPT6_ll16rocsparse_order_21rocsparse_index_base_, .Lfunc_end12-_ZN9rocsparse31csrmmnn_row_split_shared_kernelILj256ELj8EfiiDF16_DF16_fEEvNS_24const_host_device_scalarIT1_EES3_bbbT3_S4_llPKT2_PKS4_PKT4_PKT5_llPT6_ll16rocsparse_order_21rocsparse_index_base_
                                        ; -- End function
	.set _ZN9rocsparse31csrmmnn_row_split_shared_kernelILj256ELj8EfiiDF16_DF16_fEEvNS_24const_host_device_scalarIT1_EES3_bbbT3_S4_llPKT2_PKS4_PKT4_PKT5_llPT6_ll16rocsparse_order_21rocsparse_index_base_.num_vgpr, 32
	.set _ZN9rocsparse31csrmmnn_row_split_shared_kernelILj256ELj8EfiiDF16_DF16_fEEvNS_24const_host_device_scalarIT1_EES3_bbbT3_S4_llPKT2_PKS4_PKT4_PKT5_llPT6_ll16rocsparse_order_21rocsparse_index_base_.num_agpr, 0
	.set _ZN9rocsparse31csrmmnn_row_split_shared_kernelILj256ELj8EfiiDF16_DF16_fEEvNS_24const_host_device_scalarIT1_EES3_bbbT3_S4_llPKT2_PKS4_PKT4_PKT5_llPT6_ll16rocsparse_order_21rocsparse_index_base_.numbered_sgpr, 28
	.set _ZN9rocsparse31csrmmnn_row_split_shared_kernelILj256ELj8EfiiDF16_DF16_fEEvNS_24const_host_device_scalarIT1_EES3_bbbT3_S4_llPKT2_PKS4_PKT4_PKT5_llPT6_ll16rocsparse_order_21rocsparse_index_base_.num_named_barrier, 0
	.set _ZN9rocsparse31csrmmnn_row_split_shared_kernelILj256ELj8EfiiDF16_DF16_fEEvNS_24const_host_device_scalarIT1_EES3_bbbT3_S4_llPKT2_PKS4_PKT4_PKT5_llPT6_ll16rocsparse_order_21rocsparse_index_base_.private_seg_size, 0
	.set _ZN9rocsparse31csrmmnn_row_split_shared_kernelILj256ELj8EfiiDF16_DF16_fEEvNS_24const_host_device_scalarIT1_EES3_bbbT3_S4_llPKT2_PKS4_PKT4_PKT5_llPT6_ll16rocsparse_order_21rocsparse_index_base_.uses_vcc, 1
	.set _ZN9rocsparse31csrmmnn_row_split_shared_kernelILj256ELj8EfiiDF16_DF16_fEEvNS_24const_host_device_scalarIT1_EES3_bbbT3_S4_llPKT2_PKS4_PKT4_PKT5_llPT6_ll16rocsparse_order_21rocsparse_index_base_.uses_flat_scratch, 0
	.set _ZN9rocsparse31csrmmnn_row_split_shared_kernelILj256ELj8EfiiDF16_DF16_fEEvNS_24const_host_device_scalarIT1_EES3_bbbT3_S4_llPKT2_PKS4_PKT4_PKT5_llPT6_ll16rocsparse_order_21rocsparse_index_base_.has_dyn_sized_stack, 0
	.set _ZN9rocsparse31csrmmnn_row_split_shared_kernelILj256ELj8EfiiDF16_DF16_fEEvNS_24const_host_device_scalarIT1_EES3_bbbT3_S4_llPKT2_PKS4_PKT4_PKT5_llPT6_ll16rocsparse_order_21rocsparse_index_base_.has_recursion, 0
	.set _ZN9rocsparse31csrmmnn_row_split_shared_kernelILj256ELj8EfiiDF16_DF16_fEEvNS_24const_host_device_scalarIT1_EES3_bbbT3_S4_llPKT2_PKS4_PKT4_PKT5_llPT6_ll16rocsparse_order_21rocsparse_index_base_.has_indirect_call, 0
	.section	.AMDGPU.csdata,"",@progbits
; Kernel info:
; codeLenInByte = 1464
; TotalNumSgprs: 30
; NumVgprs: 32
; ScratchSize: 0
; MemoryBound: 0
; FloatMode: 240
; IeeeMode: 1
; LDSByteSize: 2048 bytes/workgroup (compile time only)
; SGPRBlocks: 0
; VGPRBlocks: 1
; NumSGPRsForWavesPerEU: 30
; NumVGPRsForWavesPerEU: 32
; NamedBarCnt: 0
; Occupancy: 16
; WaveLimiterHint : 1
; COMPUTE_PGM_RSRC2:SCRATCH_EN: 0
; COMPUTE_PGM_RSRC2:USER_SGPR: 2
; COMPUTE_PGM_RSRC2:TRAP_HANDLER: 0
; COMPUTE_PGM_RSRC2:TGID_X_EN: 1
; COMPUTE_PGM_RSRC2:TGID_Y_EN: 1
; COMPUTE_PGM_RSRC2:TGID_Z_EN: 1
; COMPUTE_PGM_RSRC2:TIDIG_COMP_CNT: 0
	.section	.text._ZN9rocsparse31csrmmnn_row_split_shared_kernelILj256ELj8EfliDF16_DF16_fEEvNS_24const_host_device_scalarIT1_EES3_bbbT3_S4_llPKT2_PKS4_PKT4_PKT5_llPT6_ll16rocsparse_order_21rocsparse_index_base_,"axG",@progbits,_ZN9rocsparse31csrmmnn_row_split_shared_kernelILj256ELj8EfliDF16_DF16_fEEvNS_24const_host_device_scalarIT1_EES3_bbbT3_S4_llPKT2_PKS4_PKT4_PKT5_llPT6_ll16rocsparse_order_21rocsparse_index_base_,comdat
	.protected	_ZN9rocsparse31csrmmnn_row_split_shared_kernelILj256ELj8EfliDF16_DF16_fEEvNS_24const_host_device_scalarIT1_EES3_bbbT3_S4_llPKT2_PKS4_PKT4_PKT5_llPT6_ll16rocsparse_order_21rocsparse_index_base_ ; -- Begin function _ZN9rocsparse31csrmmnn_row_split_shared_kernelILj256ELj8EfliDF16_DF16_fEEvNS_24const_host_device_scalarIT1_EES3_bbbT3_S4_llPKT2_PKS4_PKT4_PKT5_llPT6_ll16rocsparse_order_21rocsparse_index_base_
	.globl	_ZN9rocsparse31csrmmnn_row_split_shared_kernelILj256ELj8EfliDF16_DF16_fEEvNS_24const_host_device_scalarIT1_EES3_bbbT3_S4_llPKT2_PKS4_PKT4_PKT5_llPT6_ll16rocsparse_order_21rocsparse_index_base_
	.p2align	8
	.type	_ZN9rocsparse31csrmmnn_row_split_shared_kernelILj256ELj8EfliDF16_DF16_fEEvNS_24const_host_device_scalarIT1_EES3_bbbT3_S4_llPKT2_PKS4_PKT4_PKT5_llPT6_ll16rocsparse_order_21rocsparse_index_base_,@function
_ZN9rocsparse31csrmmnn_row_split_shared_kernelILj256ELj8EfliDF16_DF16_fEEvNS_24const_host_device_scalarIT1_EES3_bbbT3_S4_llPKT2_PKS4_PKT4_PKT5_llPT6_ll16rocsparse_order_21rocsparse_index_base_: ; @_ZN9rocsparse31csrmmnn_row_split_shared_kernelILj256ELj8EfliDF16_DF16_fEEvNS_24const_host_device_scalarIT1_EES3_bbbT3_S4_llPKT2_PKS4_PKT4_PKT5_llPT6_ll16rocsparse_order_21rocsparse_index_base_
; %bb.0:
	s_clause 0x1
	s_load_b96 s[24:26], s[0:1], 0x10
	s_load_b128 s[20:23], s[0:1], 0x0
	s_wait_kmcnt 0x0
	s_bitcmp1_b32 s24, 0
	s_cselect_b32 s2, -1, 0
	s_delay_alu instid0(SALU_CYCLE_1)
	s_and_b32 vcc_lo, exec_lo, s2
	s_xor_b32 s2, s2, -1
	s_cbranch_vccnz .LBB13_2
; %bb.1:
	s_load_b32 s20, s[20:21], 0x0
.LBB13_2:
	s_and_not1_b32 vcc_lo, exec_lo, s2
	s_cbranch_vccnz .LBB13_4
; %bb.3:
	s_load_b32 s22, s[22:23], 0x0
.LBB13_4:
	s_wait_kmcnt 0x0
	s_cmp_eq_f32 s20, 0
	s_cselect_b32 s2, -1, 0
	s_cmp_eq_f32 s22, 1.0
	s_cselect_b32 s3, -1, 0
	s_delay_alu instid0(SALU_CYCLE_1) | instskip(NEXT) | instid1(SALU_CYCLE_1)
	s_and_b32 s2, s2, s3
	s_and_b32 vcc_lo, exec_lo, s2
	s_cbranch_vccnz .LBB13_21
; %bb.5:
	s_bfe_u32 s2, ttmp6, 0x4000c
	s_and_b32 s3, ttmp6, 15
	s_add_co_i32 s2, s2, 1
	s_delay_alu instid0(SALU_CYCLE_1) | instskip(SKIP_4) | instid1(SALU_CYCLE_1)
	s_mul_i32 s4, ttmp9, s2
	s_getreg_b32 s2, hwreg(HW_REG_IB_STS2, 6, 4)
	s_add_co_i32 s3, s3, s4
	s_cmp_eq_u32 s2, 0
	s_cselect_b32 s3, ttmp9, s3
	v_lshl_or_b32 v1, s3, 8, v0
	s_mov_b32 s3, exec_lo
	s_delay_alu instid0(VALU_DEP_1) | instskip(NEXT) | instid1(VALU_DEP_1)
	v_lshrrev_b32_e32 v6, 3, v1
	v_cmpx_gt_i32_e64 s25, v6
	s_cbranch_execz .LBB13_21
; %bb.6:
	s_load_b512 s[4:19], s[0:1], 0x20
	s_bfe_u32 s3, ttmp6, 0x40014
	s_bfe_u32 s23, ttmp6, 0x40010
	s_lshr_b32 s21, ttmp7, 16
	s_add_co_i32 s3, s3, 1
	s_and_b32 s27, ttmp7, 0xffff
	s_add_co_i32 s23, s23, 1
	s_mul_i32 s3, s21, s3
	s_bfe_u32 s24, ttmp6, 0x40008
	s_mul_i32 s23, s27, s23
	s_bfe_u32 s25, ttmp6, 0x40004
	s_add_co_i32 s24, s24, s3
	s_add_co_i32 s3, s25, s23
	s_cmp_eq_u32 s2, 0
	s_mov_b32 s25, 0
	s_cselect_b32 s24, s21, s24
	s_cselect_b32 s21, s27, s3
	v_dual_lshlrev_b32 v1, 3, v6 :: v_dual_bitop2_b32 v10, 7, v0 bitop3:0x40
	s_wait_kmcnt 0x0
	s_mul_u64 s[2:3], s[4:5], s[24:25]
	s_delay_alu instid0(SALU_CYCLE_1) | instskip(NEXT) | instid1(VALU_DEP_1)
	s_lshl_b64 s[2:3], s[2:3], 3
	v_lshl_or_b32 v8, s21, 3, v10
	s_add_nc_u64 s[2:3], s[8:9], s[2:3]
	s_load_b64 s[8:9], s[0:1], 0x78
	global_load_b128 v[2:5], v1, s[2:3]
	v_dual_mov_b32 v7, 0 :: v_dual_ashrrev_i32 v9, 31, v8
	s_wait_xcnt 0x0
	s_mov_b32 s3, exec_lo
	s_delay_alu instid0(VALU_DEP_1)
	v_mov_b32_e32 v16, v7
	s_wait_loadcnt 0x0
	v_cmpx_lt_i64_e64 v[2:3], v[4:5]
	s_cbranch_execz .LBB13_14
; %bb.7:
	v_mul_u64_e32 v[14:15], s[16:17], v[8:9]
	v_mad_nc_u64_u32 v[12:13], s6, s24, v[2:3]
	v_dual_mov_b32 v11, 0 :: v_dual_lshlrev_b32 v16, 2, v0
	s_wait_kmcnt 0x0
	s_mov_b32 s4, s9
	s_mov_b32 s5, s25
	v_cmp_gt_i32_e32 vcc_lo, s26, v8
	v_sub_nc_u64_e64 v[2:3], v[2:3], s[4:5]
	v_and_b32_e32 v17, 0x3e0, v16
	v_lshlrev_b32_e32 v16, 2, v10
	v_mad_u32 v13, s7, s24, v13
	s_delay_alu instid0(VALU_DEP_3) | instskip(SKIP_1) | instid1(VALU_DEP_3)
	v_or_b32_e32 v18, 0x400, v17
	s_mul_u64 s[6:7], s[18:19], s[24:25]
	v_or_b32_e32 v19, v17, v16
	s_delay_alu instid0(VALU_DEP_2) | instskip(NEXT) | instid1(VALU_DEP_4)
	v_dual_mov_b32 v16, v11 :: v_dual_bitop2_b32 v20, v18, v16 bitop3:0x54
	v_add_nc_u64_e32 v[0:1], v[12:13], v[10:11]
	s_delay_alu instid0(VALU_DEP_1) | instskip(SKIP_3) | instid1(VALU_DEP_3)
	v_sub_nc_u64_e64 v[12:13], v[0:1], s[4:5]
	v_sub_nc_u64_e64 v[0:1], v[4:5], s[4:5]
	v_lshl_add_u64 v[14:15], v[14:15], 1, s[14:15]
	s_mov_b32 s4, s25
	v_lshl_add_u64 v[4:5], v[12:13], 2, s[10:11]
	v_lshl_add_u64 v[12:13], v[12:13], 1, s[12:13]
	s_delay_alu instid0(VALU_DEP_3)
	v_lshl_add_u64 v[14:15], s[6:7], 1, v[14:15]
	s_branch .LBB13_9
.LBB13_8:                               ;   in Loop: Header=BB13_9 Depth=1
	s_or_b32 exec_lo, exec_lo, s2
	v_add_nc_u64_e32 v[2:3], 8, v[2:3]
	v_add_nc_u64_e32 v[4:5], 32, v[4:5]
	;; [unrolled: 1-line block ×3, first 2 shown]
	s_delay_alu instid0(VALU_DEP_3) | instskip(SKIP_1) | instid1(SALU_CYCLE_1)
	v_cmp_ge_i64_e64 s2, v[2:3], v[0:1]
	s_or_b32 s4, s2, s4
	s_and_not1_b32 exec_lo, exec_lo, s4
	s_cbranch_execz .LBB13_13
.LBB13_9:                               ; =>This Inner Loop Header: Depth=1
	v_add_nc_u64_e32 v[22:23], v[10:11], v[2:3]
	v_mov_b32_e32 v21, 0
	s_barrier_signal -1
	s_barrier_wait -1
	s_delay_alu instid0(VALU_DEP_2)
	v_cmp_lt_i64_e64 s2, v[22:23], v[0:1]
	v_mov_b32_e32 v22, 0
	s_and_saveexec_b32 s5, s2
	s_cbranch_execz .LBB13_11
; %bb.10:                               ;   in Loop: Header=BB13_9 Depth=1
	global_load_b32 v21, v[4:5], off
	global_load_u16 v22, v[12:13], off
	s_wait_loadcnt 0x1
	v_subrev_nc_u32_e32 v21, s9, v21
	s_wait_loadcnt 0x0
	v_cvt_f32_f16_e32 v22, v22
.LBB13_11:                              ;   in Loop: Header=BB13_9 Depth=1
	s_or_b32 exec_lo, exec_lo, s5
	ds_store_b32 v19, v21
	ds_store_b32 v20, v22
	s_wait_dscnt 0x0
	s_barrier_signal -1
	s_barrier_wait -1
	s_and_saveexec_b32 s2, vcc_lo
	s_cbranch_execz .LBB13_8
; %bb.12:                               ;   in Loop: Header=BB13_9 Depth=1
	ds_load_b128 v[22:25], v17
	ds_load_b128 v[26:29], v17 offset:16
	s_wait_dscnt 0x1
	v_dual_mov_b32 v30, v22 :: v_dual_ashrrev_i32 v31, 31, v22
	v_dual_mov_b32 v32, v23 :: v_dual_ashrrev_i32 v33, 31, v23
	s_delay_alu instid0(VALU_DEP_2)
	v_lshl_add_u64 v[22:23], v[30:31], 1, v[14:15]
	v_dual_mov_b32 v30, v24 :: v_dual_ashrrev_i32 v31, 31, v24
	s_wait_dscnt 0x0
	v_mov_b32_e32 v24, v26
	global_load_u16 v21, v[22:23], off
	s_wait_xcnt 0x0
	v_lshl_add_u64 v[22:23], v[32:33], 1, v[14:15]
	v_lshl_add_u64 v[30:31], v[30:31], 1, v[14:15]
	v_dual_mov_b32 v32, v25 :: v_dual_ashrrev_i32 v33, 31, v25
	s_clause 0x1
	global_load_u16 v34, v[22:23], off
	global_load_u16 v35, v[30:31], off
	s_wait_xcnt 0x0
	v_dual_ashrrev_i32 v25, 31, v26 :: v_dual_ashrrev_i32 v31, 31, v27
	v_mov_b32_e32 v30, v27
	v_lshl_add_u64 v[22:23], v[32:33], 1, v[14:15]
	v_dual_mov_b32 v26, v28 :: v_dual_ashrrev_i32 v27, 31, v28
	global_load_u16 v32, v[22:23], off
	s_wait_xcnt 0x0
	v_lshl_add_u64 v[22:23], v[24:25], 1, v[14:15]
	v_lshl_add_u64 v[24:25], v[30:31], 1, v[14:15]
	s_clause 0x1
	global_load_u16 v30, v[22:23], off
	global_load_u16 v31, v[24:25], off
	s_wait_xcnt 0x1
	v_dual_mov_b32 v22, v29 :: v_dual_ashrrev_i32 v23, 31, v29
	s_wait_xcnt 0x0
	v_lshl_add_u64 v[24:25], v[26:27], 1, v[14:15]
	s_delay_alu instid0(VALU_DEP_2)
	v_lshl_add_u64 v[22:23], v[22:23], 1, v[14:15]
	s_clause 0x1
	global_load_u16 v33, v[24:25], off
	global_load_u16 v36, v[22:23], off
	s_wait_xcnt 0x0
	ds_load_b128 v[22:25], v18
	ds_load_b128 v[26:29], v18 offset:16
	s_wait_loadcnt_dscnt 0x701
	v_fma_mix_f32 v16, v22, v21, v16 op_sel_hi:[0,1,0]
	s_wait_loadcnt 0x6
	s_delay_alu instid0(VALU_DEP_1) | instskip(SKIP_1) | instid1(VALU_DEP_1)
	v_fma_mix_f32 v16, v23, v34, v16 op_sel_hi:[0,1,0]
	s_wait_loadcnt 0x5
	v_fma_mix_f32 v16, v24, v35, v16 op_sel_hi:[0,1,0]
	s_wait_loadcnt 0x4
	s_delay_alu instid0(VALU_DEP_1) | instskip(SKIP_1) | instid1(VALU_DEP_1)
	v_fma_mix_f32 v16, v25, v32, v16 op_sel_hi:[0,1,0]
	s_wait_loadcnt_dscnt 0x300
	v_fma_mix_f32 v16, v26, v30, v16 op_sel_hi:[0,1,0]
	s_wait_loadcnt 0x2
	s_delay_alu instid0(VALU_DEP_1) | instskip(SKIP_1) | instid1(VALU_DEP_1)
	v_fma_mix_f32 v16, v27, v31, v16 op_sel_hi:[0,1,0]
	s_wait_loadcnt 0x1
	v_fma_mix_f32 v16, v28, v33, v16 op_sel_hi:[0,1,0]
	s_wait_loadcnt 0x0
	s_delay_alu instid0(VALU_DEP_1)
	v_fma_mix_f32 v16, v29, v36, v16 op_sel_hi:[0,1,0]
	s_branch .LBB13_8
.LBB13_13:
	s_or_b32 exec_lo, exec_lo, s4
.LBB13_14:
	s_delay_alu instid0(SALU_CYCLE_1)
	s_or_b32 exec_lo, exec_lo, s3
	v_cmp_gt_i32_e32 vcc_lo, s26, v8
	s_and_b32 exec_lo, exec_lo, vcc_lo
	s_cbranch_execz .LBB13_21
; %bb.15:
	s_clause 0x1
	s_load_b64 s[10:11], s[0:1], 0x70
	s_load_b128 s[4:7], s[0:1], 0x60
	s_wait_kmcnt 0x0
	s_cmp_lg_u32 s8, 1
	v_mul_f32_e32 v0, s20, v16
	s_cselect_b32 s2, -1, 0
	s_cmp_neq_f32 s22, 0
	s_mul_u64 s[0:1], s[10:11], s[24:25]
	s_cbranch_scc0 .LBB13_22
; %bb.16:
	s_and_b32 vcc_lo, exec_lo, s2
	s_mov_b32 s3, -1
	s_cbranch_vccz .LBB13_18
; %bb.17:
	v_mul_u64_e32 v[2:3], s[6:7], v[6:7]
	s_mov_b32 s3, 0
	s_delay_alu instid0(VALU_DEP_1) | instskip(NEXT) | instid1(VALU_DEP_1)
	v_lshl_add_u64 v[2:3], v[2:3], 2, s[4:5]
	v_lshl_add_u64 v[2:3], v[8:9], 2, v[2:3]
	s_delay_alu instid0(VALU_DEP_1)
	v_lshl_add_u64 v[2:3], s[0:1], 2, v[2:3]
	global_load_b32 v1, v[2:3], off
	s_wait_loadcnt 0x0
	v_fma_f32 v1, s22, v1, v0
	global_store_b32 v[2:3], v1, off
.LBB13_18:
	s_and_not1_b32 vcc_lo, exec_lo, s3
	s_cbranch_vccnz .LBB13_20
; %bb.19:
	s_wait_xcnt 0x0
	v_mul_u64_e32 v[2:3], s[6:7], v[8:9]
	v_dual_mov_b32 v5, 0 :: v_dual_lshlrev_b32 v4, 2, v6
	s_delay_alu instid0(VALU_DEP_2) | instskip(NEXT) | instid1(VALU_DEP_1)
	v_lshl_add_u64 v[2:3], v[2:3], 2, s[4:5]
	v_add_nc_u64_e32 v[2:3], v[2:3], v[4:5]
	s_delay_alu instid0(VALU_DEP_1)
	v_lshl_add_u64 v[2:3], s[0:1], 2, v[2:3]
	global_load_b32 v1, v[2:3], off
	s_wait_loadcnt 0x0
	v_fma_f32 v1, s22, v1, v0
	global_store_b32 v[2:3], v1, off
.LBB13_20:
	s_cbranch_execz .LBB13_23
.LBB13_21:
	s_endpgm
.LBB13_22:
.LBB13_23:
	s_and_b32 vcc_lo, exec_lo, s2
	s_mov_b32 s2, -1
	s_cbranch_vccz .LBB13_25
; %bb.24:
	s_wait_xcnt 0x0
	v_mul_u64_e32 v[2:3], s[6:7], v[6:7]
	s_mov_b32 s2, 0
	s_delay_alu instid0(VALU_DEP_1) | instskip(NEXT) | instid1(VALU_DEP_1)
	v_lshl_add_u64 v[2:3], v[2:3], 2, s[4:5]
	v_lshl_add_u64 v[2:3], v[8:9], 2, v[2:3]
	s_delay_alu instid0(VALU_DEP_1)
	v_lshl_add_u64 v[2:3], s[0:1], 2, v[2:3]
	global_store_b32 v[2:3], v0, off
.LBB13_25:
	s_and_not1_b32 vcc_lo, exec_lo, s2
	s_cbranch_vccnz .LBB13_21
; %bb.26:
	s_wait_xcnt 0x0
	v_mul_u64_e32 v[2:3], s[6:7], v[8:9]
	v_dual_mov_b32 v5, 0 :: v_dual_lshlrev_b32 v4, 2, v6
	s_delay_alu instid0(VALU_DEP_2) | instskip(NEXT) | instid1(VALU_DEP_1)
	v_lshl_add_u64 v[2:3], v[2:3], 2, s[4:5]
	v_add_nc_u64_e32 v[2:3], v[2:3], v[4:5]
	s_delay_alu instid0(VALU_DEP_1)
	v_lshl_add_u64 v[2:3], s[0:1], 2, v[2:3]
	global_store_b32 v[2:3], v0, off
	s_endpgm
	.section	.rodata,"a",@progbits
	.p2align	6, 0x0
	.amdhsa_kernel _ZN9rocsparse31csrmmnn_row_split_shared_kernelILj256ELj8EfliDF16_DF16_fEEvNS_24const_host_device_scalarIT1_EES3_bbbT3_S4_llPKT2_PKS4_PKT4_PKT5_llPT6_ll16rocsparse_order_21rocsparse_index_base_
		.amdhsa_group_segment_fixed_size 2048
		.amdhsa_private_segment_fixed_size 0
		.amdhsa_kernarg_size 128
		.amdhsa_user_sgpr_count 2
		.amdhsa_user_sgpr_dispatch_ptr 0
		.amdhsa_user_sgpr_queue_ptr 0
		.amdhsa_user_sgpr_kernarg_segment_ptr 1
		.amdhsa_user_sgpr_dispatch_id 0
		.amdhsa_user_sgpr_kernarg_preload_length 0
		.amdhsa_user_sgpr_kernarg_preload_offset 0
		.amdhsa_user_sgpr_private_segment_size 0
		.amdhsa_wavefront_size32 1
		.amdhsa_uses_dynamic_stack 0
		.amdhsa_enable_private_segment 0
		.amdhsa_system_sgpr_workgroup_id_x 1
		.amdhsa_system_sgpr_workgroup_id_y 1
		.amdhsa_system_sgpr_workgroup_id_z 1
		.amdhsa_system_sgpr_workgroup_info 0
		.amdhsa_system_vgpr_workitem_id 0
		.amdhsa_next_free_vgpr 37
		.amdhsa_next_free_sgpr 28
		.amdhsa_named_barrier_count 0
		.amdhsa_reserve_vcc 1
		.amdhsa_float_round_mode_32 0
		.amdhsa_float_round_mode_16_64 0
		.amdhsa_float_denorm_mode_32 3
		.amdhsa_float_denorm_mode_16_64 3
		.amdhsa_fp16_overflow 0
		.amdhsa_memory_ordered 1
		.amdhsa_forward_progress 1
		.amdhsa_inst_pref_size 12
		.amdhsa_round_robin_scheduling 0
		.amdhsa_exception_fp_ieee_invalid_op 0
		.amdhsa_exception_fp_denorm_src 0
		.amdhsa_exception_fp_ieee_div_zero 0
		.amdhsa_exception_fp_ieee_overflow 0
		.amdhsa_exception_fp_ieee_underflow 0
		.amdhsa_exception_fp_ieee_inexact 0
		.amdhsa_exception_int_div_zero 0
	.end_amdhsa_kernel
	.section	.text._ZN9rocsparse31csrmmnn_row_split_shared_kernelILj256ELj8EfliDF16_DF16_fEEvNS_24const_host_device_scalarIT1_EES3_bbbT3_S4_llPKT2_PKS4_PKT4_PKT5_llPT6_ll16rocsparse_order_21rocsparse_index_base_,"axG",@progbits,_ZN9rocsparse31csrmmnn_row_split_shared_kernelILj256ELj8EfliDF16_DF16_fEEvNS_24const_host_device_scalarIT1_EES3_bbbT3_S4_llPKT2_PKS4_PKT4_PKT5_llPT6_ll16rocsparse_order_21rocsparse_index_base_,comdat
.Lfunc_end13:
	.size	_ZN9rocsparse31csrmmnn_row_split_shared_kernelILj256ELj8EfliDF16_DF16_fEEvNS_24const_host_device_scalarIT1_EES3_bbbT3_S4_llPKT2_PKS4_PKT4_PKT5_llPT6_ll16rocsparse_order_21rocsparse_index_base_, .Lfunc_end13-_ZN9rocsparse31csrmmnn_row_split_shared_kernelILj256ELj8EfliDF16_DF16_fEEvNS_24const_host_device_scalarIT1_EES3_bbbT3_S4_llPKT2_PKS4_PKT4_PKT5_llPT6_ll16rocsparse_order_21rocsparse_index_base_
                                        ; -- End function
	.set _ZN9rocsparse31csrmmnn_row_split_shared_kernelILj256ELj8EfliDF16_DF16_fEEvNS_24const_host_device_scalarIT1_EES3_bbbT3_S4_llPKT2_PKS4_PKT4_PKT5_llPT6_ll16rocsparse_order_21rocsparse_index_base_.num_vgpr, 37
	.set _ZN9rocsparse31csrmmnn_row_split_shared_kernelILj256ELj8EfliDF16_DF16_fEEvNS_24const_host_device_scalarIT1_EES3_bbbT3_S4_llPKT2_PKS4_PKT4_PKT5_llPT6_ll16rocsparse_order_21rocsparse_index_base_.num_agpr, 0
	.set _ZN9rocsparse31csrmmnn_row_split_shared_kernelILj256ELj8EfliDF16_DF16_fEEvNS_24const_host_device_scalarIT1_EES3_bbbT3_S4_llPKT2_PKS4_PKT4_PKT5_llPT6_ll16rocsparse_order_21rocsparse_index_base_.numbered_sgpr, 28
	.set _ZN9rocsparse31csrmmnn_row_split_shared_kernelILj256ELj8EfliDF16_DF16_fEEvNS_24const_host_device_scalarIT1_EES3_bbbT3_S4_llPKT2_PKS4_PKT4_PKT5_llPT6_ll16rocsparse_order_21rocsparse_index_base_.num_named_barrier, 0
	.set _ZN9rocsparse31csrmmnn_row_split_shared_kernelILj256ELj8EfliDF16_DF16_fEEvNS_24const_host_device_scalarIT1_EES3_bbbT3_S4_llPKT2_PKS4_PKT4_PKT5_llPT6_ll16rocsparse_order_21rocsparse_index_base_.private_seg_size, 0
	.set _ZN9rocsparse31csrmmnn_row_split_shared_kernelILj256ELj8EfliDF16_DF16_fEEvNS_24const_host_device_scalarIT1_EES3_bbbT3_S4_llPKT2_PKS4_PKT4_PKT5_llPT6_ll16rocsparse_order_21rocsparse_index_base_.uses_vcc, 1
	.set _ZN9rocsparse31csrmmnn_row_split_shared_kernelILj256ELj8EfliDF16_DF16_fEEvNS_24const_host_device_scalarIT1_EES3_bbbT3_S4_llPKT2_PKS4_PKT4_PKT5_llPT6_ll16rocsparse_order_21rocsparse_index_base_.uses_flat_scratch, 0
	.set _ZN9rocsparse31csrmmnn_row_split_shared_kernelILj256ELj8EfliDF16_DF16_fEEvNS_24const_host_device_scalarIT1_EES3_bbbT3_S4_llPKT2_PKS4_PKT4_PKT5_llPT6_ll16rocsparse_order_21rocsparse_index_base_.has_dyn_sized_stack, 0
	.set _ZN9rocsparse31csrmmnn_row_split_shared_kernelILj256ELj8EfliDF16_DF16_fEEvNS_24const_host_device_scalarIT1_EES3_bbbT3_S4_llPKT2_PKS4_PKT4_PKT5_llPT6_ll16rocsparse_order_21rocsparse_index_base_.has_recursion, 0
	.set _ZN9rocsparse31csrmmnn_row_split_shared_kernelILj256ELj8EfliDF16_DF16_fEEvNS_24const_host_device_scalarIT1_EES3_bbbT3_S4_llPKT2_PKS4_PKT4_PKT5_llPT6_ll16rocsparse_order_21rocsparse_index_base_.has_indirect_call, 0
	.section	.AMDGPU.csdata,"",@progbits
; Kernel info:
; codeLenInByte = 1524
; TotalNumSgprs: 30
; NumVgprs: 37
; ScratchSize: 0
; MemoryBound: 0
; FloatMode: 240
; IeeeMode: 1
; LDSByteSize: 2048 bytes/workgroup (compile time only)
; SGPRBlocks: 0
; VGPRBlocks: 2
; NumSGPRsForWavesPerEU: 30
; NumVGPRsForWavesPerEU: 37
; NamedBarCnt: 0
; Occupancy: 16
; WaveLimiterHint : 1
; COMPUTE_PGM_RSRC2:SCRATCH_EN: 0
; COMPUTE_PGM_RSRC2:USER_SGPR: 2
; COMPUTE_PGM_RSRC2:TRAP_HANDLER: 0
; COMPUTE_PGM_RSRC2:TGID_X_EN: 1
; COMPUTE_PGM_RSRC2:TGID_Y_EN: 1
; COMPUTE_PGM_RSRC2:TGID_Z_EN: 1
; COMPUTE_PGM_RSRC2:TIDIG_COMP_CNT: 0
	.section	.text._ZN9rocsparse31csrmmnn_row_split_shared_kernelILj256ELj8EfllDF16_DF16_fEEvNS_24const_host_device_scalarIT1_EES3_bbbT3_S4_llPKT2_PKS4_PKT4_PKT5_llPT6_ll16rocsparse_order_21rocsparse_index_base_,"axG",@progbits,_ZN9rocsparse31csrmmnn_row_split_shared_kernelILj256ELj8EfllDF16_DF16_fEEvNS_24const_host_device_scalarIT1_EES3_bbbT3_S4_llPKT2_PKS4_PKT4_PKT5_llPT6_ll16rocsparse_order_21rocsparse_index_base_,comdat
	.protected	_ZN9rocsparse31csrmmnn_row_split_shared_kernelILj256ELj8EfllDF16_DF16_fEEvNS_24const_host_device_scalarIT1_EES3_bbbT3_S4_llPKT2_PKS4_PKT4_PKT5_llPT6_ll16rocsparse_order_21rocsparse_index_base_ ; -- Begin function _ZN9rocsparse31csrmmnn_row_split_shared_kernelILj256ELj8EfllDF16_DF16_fEEvNS_24const_host_device_scalarIT1_EES3_bbbT3_S4_llPKT2_PKS4_PKT4_PKT5_llPT6_ll16rocsparse_order_21rocsparse_index_base_
	.globl	_ZN9rocsparse31csrmmnn_row_split_shared_kernelILj256ELj8EfllDF16_DF16_fEEvNS_24const_host_device_scalarIT1_EES3_bbbT3_S4_llPKT2_PKS4_PKT4_PKT5_llPT6_ll16rocsparse_order_21rocsparse_index_base_
	.p2align	8
	.type	_ZN9rocsparse31csrmmnn_row_split_shared_kernelILj256ELj8EfllDF16_DF16_fEEvNS_24const_host_device_scalarIT1_EES3_bbbT3_S4_llPKT2_PKS4_PKT4_PKT5_llPT6_ll16rocsparse_order_21rocsparse_index_base_,@function
_ZN9rocsparse31csrmmnn_row_split_shared_kernelILj256ELj8EfllDF16_DF16_fEEvNS_24const_host_device_scalarIT1_EES3_bbbT3_S4_llPKT2_PKS4_PKT4_PKT5_llPT6_ll16rocsparse_order_21rocsparse_index_base_: ; @_ZN9rocsparse31csrmmnn_row_split_shared_kernelILj256ELj8EfllDF16_DF16_fEEvNS_24const_host_device_scalarIT1_EES3_bbbT3_S4_llPKT2_PKS4_PKT4_PKT5_llPT6_ll16rocsparse_order_21rocsparse_index_base_
; %bb.0:
	s_clause 0x1
	s_load_b32 s2, s[0:1], 0x10
	s_load_b128 s[28:31], s[0:1], 0x0
	s_wait_kmcnt 0x0
	s_bitcmp1_b32 s2, 0
	s_cselect_b32 s2, -1, 0
	s_delay_alu instid0(SALU_CYCLE_1)
	s_and_b32 vcc_lo, exec_lo, s2
	s_xor_b32 s2, s2, -1
	s_cbranch_vccnz .LBB14_2
; %bb.1:
	s_load_b32 s28, s[28:29], 0x0
.LBB14_2:
	s_and_not1_b32 vcc_lo, exec_lo, s2
	s_cbranch_vccnz .LBB14_4
; %bb.3:
	s_load_b32 s30, s[30:31], 0x0
.LBB14_4:
	s_wait_kmcnt 0x0
	s_cmp_eq_f32 s28, 0
	s_cselect_b32 s2, -1, 0
	s_cmp_eq_f32 s30, 1.0
	s_cselect_b32 s3, -1, 0
	s_delay_alu instid0(SALU_CYCLE_1) | instskip(NEXT) | instid1(SALU_CYCLE_1)
	s_and_b32 s2, s2, s3
	s_and_b32 vcc_lo, exec_lo, s2
	s_cbranch_vccnz .LBB14_21
; %bb.5:
	s_bfe_u32 s2, ttmp6, 0x4000c
	s_load_b512 s[4:19], s[0:1], 0x18
	s_add_co_i32 s2, s2, 1
	s_and_b32 s3, ttmp6, 15
	s_mul_i32 s20, ttmp9, s2
	s_getreg_b32 s2, hwreg(HW_REG_IB_STS2, 6, 4)
	s_add_co_i32 s3, s3, s20
	s_cmp_eq_u32 s2, 0
	v_mov_b32_e32 v7, 0
	s_cselect_b32 s3, ttmp9, s3
	s_delay_alu instid0(SALU_CYCLE_1) | instskip(SKIP_1) | instid1(VALU_DEP_1)
	v_lshl_or_b32 v1, s3, 8, v0
	s_mov_b32 s3, exec_lo
	v_lshrrev_b32_e32 v6, 3, v1
	s_wait_kmcnt 0x0
	s_delay_alu instid0(VALU_DEP_1)
	v_cmpx_gt_i64_e64 s[4:5], v[6:7]
	s_cbranch_execz .LBB14_21
; %bb.6:
	s_bfe_u32 s3, ttmp6, 0x40014
	s_bfe_u32 s5, ttmp6, 0x40010
	s_lshr_b32 s4, ttmp7, 16
	s_add_co_i32 s3, s3, 1
	s_and_b32 s20, ttmp7, 0xffff
	s_add_co_i32 s5, s5, 1
	s_mul_i32 s3, s4, s3
	s_bfe_u32 s21, ttmp6, 0x40008
	s_mul_i32 s5, s20, s5
	s_bfe_u32 s22, ttmp6, 0x40004
	s_add_co_i32 s21, s21, s3
	s_add_co_i32 s22, s22, s5
	s_cmp_eq_u32 s2, 0
	s_mov_b32 s3, 0
	s_cselect_b32 s2, s4, s21
	v_dual_lshlrev_b32 v1, 3, v6 :: v_dual_bitop2_b32 v10, 7, v0 bitop3:0x40
	s_mul_u64 s[4:5], s[8:9], s[2:3]
	s_cselect_b32 s29, s20, s22
	s_lshl_b64 s[4:5], s[4:5], 3
	v_dual_mov_b32 v9, v7 :: v_dual_mov_b32 v18, v7
	s_add_nc_u64 s[4:5], s[12:13], s[4:5]
	v_lshl_or_b32 v8, s29, 3, v10
	global_load_b128 v[2:5], v1, s[4:5]
	s_clause 0x1
	s_load_b256 s[20:27], s[0:1], 0x58
	s_load_b128 s[36:39], s[0:1], 0x78
	s_wait_xcnt 0x0
	s_mov_b32 s1, exec_lo
	s_wait_loadcnt 0x0
	v_cmpx_lt_i64_e64 v[2:3], v[4:5]
	s_cbranch_execz .LBB14_14
; %bb.7:
	s_wait_kmcnt 0x0
	v_mul_u64_e32 v[14:15], s[20:21], v[8:9]
	v_mad_nc_u64_u32 v[12:13], s10, s2, v[2:3]
	v_dual_mov_b32 v11, 0 :: v_dual_lshrrev_b32 v0, 3, v0
	s_mov_b32 s4, s39
	s_mov_b32 s5, s3
	s_mul_u64 s[8:9], s[22:23], s[2:3]
	v_sub_nc_u64_e64 v[2:3], v[2:3], s[4:5]
	v_dual_mov_b32 v18, v11 :: v_dual_lshlrev_b32 v19, 6, v0
	v_lshl_or_b32 v20, v0, 5, 0x800
	v_sub_nc_u64_e64 v[0:1], v[4:5], s[4:5]
	v_mad_u32 v13, s11, s2, v13
	s_delay_alu instid0(VALU_DEP_4) | instskip(SKIP_2) | instid1(VALU_DEP_4)
	v_lshl_or_b32 v21, v10, 3, v19
	v_cmp_gt_i64_e32 vcc_lo, s[6:7], v[8:9]
	v_lshl_or_b32 v22, v10, 2, v20
	v_add_nc_u64_e32 v[12:13], v[12:13], v[10:11]
	s_delay_alu instid0(VALU_DEP_1) | instskip(SKIP_1) | instid1(VALU_DEP_2)
	v_sub_nc_u64_e64 v[12:13], v[12:13], s[4:5]
	v_lshl_add_u64 v[14:15], v[14:15], 1, s[18:19]
	v_lshl_add_u64 v[4:5], v[12:13], 3, s[14:15]
	;; [unrolled: 1-line block ×3, first 2 shown]
	s_delay_alu instid0(VALU_DEP_3)
	v_lshl_add_u64 v[14:15], s[8:9], 1, v[14:15]
	s_mov_b32 s8, s3
	s_branch .LBB14_9
.LBB14_8:                               ;   in Loop: Header=BB14_9 Depth=1
	s_or_b32 exec_lo, exec_lo, s0
	v_add_nc_u64_e32 v[2:3], 8, v[2:3]
	v_add_nc_u64_e32 v[4:5], 64, v[4:5]
	;; [unrolled: 1-line block ×3, first 2 shown]
	s_delay_alu instid0(VALU_DEP_3) | instskip(SKIP_1) | instid1(SALU_CYCLE_1)
	v_cmp_ge_i64_e64 s0, v[2:3], v[0:1]
	s_or_b32 s8, s0, s8
	s_and_not1_b32 exec_lo, exec_lo, s8
	s_cbranch_execz .LBB14_13
.LBB14_9:                               ; =>This Inner Loop Header: Depth=1
	v_add_nc_u64_e32 v[16:17], v[10:11], v[2:3]
	v_mov_b32_e32 v23, 0
	s_barrier_signal -1
	s_barrier_wait -1
	s_delay_alu instid0(VALU_DEP_2)
	v_cmp_lt_i64_e64 s0, v[16:17], v[0:1]
	v_mov_b64_e32 v[16:17], 0
	s_and_saveexec_b32 s9, s0
	s_cbranch_execz .LBB14_11
; %bb.10:                               ;   in Loop: Header=BB14_9 Depth=1
	global_load_b64 v[16:17], v[4:5], off
	global_load_u16 v23, v[12:13], off
	s_wait_loadcnt 0x1
	v_sub_nc_u64_e64 v[16:17], v[16:17], s[4:5]
	s_wait_loadcnt 0x0
	v_cvt_f32_f16_e32 v23, v23
.LBB14_11:                              ;   in Loop: Header=BB14_9 Depth=1
	s_or_b32 exec_lo, exec_lo, s9
	ds_store_b64 v21, v[16:17]
	ds_store_b32 v22, v23
	s_wait_dscnt 0x0
	s_barrier_signal -1
	s_barrier_wait -1
	s_and_saveexec_b32 s0, vcc_lo
	s_cbranch_execz .LBB14_8
; %bb.12:                               ;   in Loop: Header=BB14_9 Depth=1
	ds_load_b128 v[24:27], v19
	ds_load_b128 v[28:31], v19 offset:16
	ds_load_b128 v[32:35], v19 offset:32
	s_wait_dscnt 0x2
	v_lshl_add_u64 v[16:17], v[24:25], 1, v[14:15]
	v_lshl_add_u64 v[36:37], v[26:27], 1, v[14:15]
	ds_load_b128 v[24:27], v19 offset:48
	s_clause 0x1
	global_load_u16 v23, v[16:17], off
	global_load_u16 v36, v[36:37], off
	s_wait_dscnt 0x2
	s_wait_xcnt 0x1
	v_lshl_add_u64 v[16:17], v[28:29], 1, v[14:15]
	v_lshl_add_u64 v[28:29], v[30:31], 1, v[14:15]
	s_clause 0x1
	global_load_u16 v37, v[16:17], off
	global_load_u16 v38, v[28:29], off
	s_wait_dscnt 0x1
	s_wait_xcnt 0x1
	v_lshl_add_u64 v[16:17], v[32:33], 1, v[14:15]
	s_wait_xcnt 0x0
	v_lshl_add_u64 v[28:29], v[34:35], 1, v[14:15]
	s_clause 0x1
	global_load_u16 v32, v[16:17], off
	global_load_u16 v33, v[28:29], off
	s_wait_dscnt 0x0
	s_wait_xcnt 0x1
	v_lshl_add_u64 v[16:17], v[24:25], 1, v[14:15]
	v_lshl_add_u64 v[24:25], v[26:27], 1, v[14:15]
	s_clause 0x1
	global_load_u16 v34, v[16:17], off
	global_load_u16 v35, v[24:25], off
	s_wait_xcnt 0x0
	ds_load_b128 v[24:27], v20
	ds_load_b128 v[28:31], v20 offset:16
	s_wait_loadcnt_dscnt 0x701
	v_fma_mix_f32 v16, v24, v23, v18 op_sel_hi:[0,1,0]
	s_wait_loadcnt 0x6
	s_delay_alu instid0(VALU_DEP_1) | instskip(SKIP_1) | instid1(VALU_DEP_1)
	v_fma_mix_f32 v16, v25, v36, v16 op_sel_hi:[0,1,0]
	s_wait_loadcnt 0x5
	v_fma_mix_f32 v16, v26, v37, v16 op_sel_hi:[0,1,0]
	s_wait_loadcnt 0x4
	s_delay_alu instid0(VALU_DEP_1) | instskip(SKIP_1) | instid1(VALU_DEP_1)
	v_fma_mix_f32 v16, v27, v38, v16 op_sel_hi:[0,1,0]
	s_wait_loadcnt_dscnt 0x300
	v_fma_mix_f32 v16, v28, v32, v16 op_sel_hi:[0,1,0]
	s_wait_loadcnt 0x2
	s_delay_alu instid0(VALU_DEP_1) | instskip(SKIP_1) | instid1(VALU_DEP_1)
	v_fma_mix_f32 v16, v29, v33, v16 op_sel_hi:[0,1,0]
	s_wait_loadcnt 0x1
	v_fma_mix_f32 v16, v30, v34, v16 op_sel_hi:[0,1,0]
	s_wait_loadcnt 0x0
	s_delay_alu instid0(VALU_DEP_1)
	v_fma_mix_f32 v18, v31, v35, v16 op_sel_hi:[0,1,0]
	s_branch .LBB14_8
.LBB14_13:
	s_or_b32 exec_lo, exec_lo, s8
.LBB14_14:
	s_delay_alu instid0(SALU_CYCLE_1)
	s_or_b32 exec_lo, exec_lo, s1
	v_cmp_gt_i64_e32 vcc_lo, s[6:7], v[8:9]
	s_and_b32 exec_lo, exec_lo, vcc_lo
	s_cbranch_execz .LBB14_21
; %bb.15:
	s_wait_kmcnt 0x0
	s_cmp_lg_u32 s38, 1
	v_mul_f32_e32 v0, s28, v18
	s_cselect_b32 s4, -1, 0
	s_cmp_neq_f32 s30, 0
	s_mul_u64 s[0:1], s[36:37], s[2:3]
	s_cbranch_scc0 .LBB14_22
; %bb.16:
	s_and_b32 vcc_lo, exec_lo, s4
	s_mov_b32 s2, -1
	s_cbranch_vccz .LBB14_18
; %bb.17:
	v_mul_u64_e32 v[2:3], s[26:27], v[6:7]
	s_mov_b32 s2, 0
	s_delay_alu instid0(VALU_DEP_1) | instskip(NEXT) | instid1(VALU_DEP_1)
	v_lshl_add_u64 v[2:3], v[2:3], 2, s[24:25]
	v_lshl_add_u64 v[2:3], v[8:9], 2, v[2:3]
	s_delay_alu instid0(VALU_DEP_1)
	v_lshl_add_u64 v[2:3], s[0:1], 2, v[2:3]
	global_load_b32 v1, v[2:3], off
	s_wait_loadcnt 0x0
	v_fma_f32 v1, s30, v1, v0
	global_store_b32 v[2:3], v1, off
.LBB14_18:
	s_and_not1_b32 vcc_lo, exec_lo, s2
	s_cbranch_vccnz .LBB14_20
; %bb.19:
	s_wait_xcnt 0x0
	v_mul_u64_e32 v[2:3], s[26:27], v[8:9]
	v_dual_mov_b32 v5, 0 :: v_dual_lshlrev_b32 v4, 2, v6
	s_delay_alu instid0(VALU_DEP_2) | instskip(NEXT) | instid1(VALU_DEP_1)
	v_lshl_add_u64 v[2:3], v[2:3], 2, s[24:25]
	v_add_nc_u64_e32 v[2:3], v[2:3], v[4:5]
	s_delay_alu instid0(VALU_DEP_1)
	v_lshl_add_u64 v[2:3], s[0:1], 2, v[2:3]
	global_load_b32 v1, v[2:3], off
	s_wait_loadcnt 0x0
	v_fma_f32 v1, s30, v1, v0
	global_store_b32 v[2:3], v1, off
.LBB14_20:
	s_cbranch_execz .LBB14_23
.LBB14_21:
	s_endpgm
.LBB14_22:
.LBB14_23:
	s_and_b32 vcc_lo, exec_lo, s4
	s_mov_b32 s2, -1
	s_cbranch_vccz .LBB14_25
; %bb.24:
	s_wait_xcnt 0x0
	v_mul_u64_e32 v[2:3], s[26:27], v[6:7]
	s_mov_b32 s2, 0
	s_delay_alu instid0(VALU_DEP_1) | instskip(NEXT) | instid1(VALU_DEP_1)
	v_lshl_add_u64 v[2:3], v[2:3], 2, s[24:25]
	v_lshl_add_u64 v[2:3], v[8:9], 2, v[2:3]
	s_delay_alu instid0(VALU_DEP_1)
	v_lshl_add_u64 v[2:3], s[0:1], 2, v[2:3]
	global_store_b32 v[2:3], v0, off
.LBB14_25:
	s_and_not1_b32 vcc_lo, exec_lo, s2
	s_cbranch_vccnz .LBB14_21
; %bb.26:
	s_wait_xcnt 0x0
	v_mul_u64_e32 v[2:3], s[26:27], v[8:9]
	v_dual_mov_b32 v5, 0 :: v_dual_lshlrev_b32 v4, 2, v6
	s_delay_alu instid0(VALU_DEP_2) | instskip(NEXT) | instid1(VALU_DEP_1)
	v_lshl_add_u64 v[2:3], v[2:3], 2, s[24:25]
	v_add_nc_u64_e32 v[2:3], v[2:3], v[4:5]
	s_delay_alu instid0(VALU_DEP_1)
	v_lshl_add_u64 v[2:3], s[0:1], 2, v[2:3]
	global_store_b32 v[2:3], v0, off
	s_endpgm
	.section	.rodata,"a",@progbits
	.p2align	6, 0x0
	.amdhsa_kernel _ZN9rocsparse31csrmmnn_row_split_shared_kernelILj256ELj8EfllDF16_DF16_fEEvNS_24const_host_device_scalarIT1_EES3_bbbT3_S4_llPKT2_PKS4_PKT4_PKT5_llPT6_ll16rocsparse_order_21rocsparse_index_base_
		.amdhsa_group_segment_fixed_size 3072
		.amdhsa_private_segment_fixed_size 0
		.amdhsa_kernarg_size 136
		.amdhsa_user_sgpr_count 2
		.amdhsa_user_sgpr_dispatch_ptr 0
		.amdhsa_user_sgpr_queue_ptr 0
		.amdhsa_user_sgpr_kernarg_segment_ptr 1
		.amdhsa_user_sgpr_dispatch_id 0
		.amdhsa_user_sgpr_kernarg_preload_length 0
		.amdhsa_user_sgpr_kernarg_preload_offset 0
		.amdhsa_user_sgpr_private_segment_size 0
		.amdhsa_wavefront_size32 1
		.amdhsa_uses_dynamic_stack 0
		.amdhsa_enable_private_segment 0
		.amdhsa_system_sgpr_workgroup_id_x 1
		.amdhsa_system_sgpr_workgroup_id_y 1
		.amdhsa_system_sgpr_workgroup_id_z 1
		.amdhsa_system_sgpr_workgroup_info 0
		.amdhsa_system_vgpr_workitem_id 0
		.amdhsa_next_free_vgpr 39
		.amdhsa_next_free_sgpr 40
		.amdhsa_named_barrier_count 0
		.amdhsa_reserve_vcc 1
		.amdhsa_float_round_mode_32 0
		.amdhsa_float_round_mode_16_64 0
		.amdhsa_float_denorm_mode_32 3
		.amdhsa_float_denorm_mode_16_64 3
		.amdhsa_fp16_overflow 0
		.amdhsa_memory_ordered 1
		.amdhsa_forward_progress 1
		.amdhsa_inst_pref_size 12
		.amdhsa_round_robin_scheduling 0
		.amdhsa_exception_fp_ieee_invalid_op 0
		.amdhsa_exception_fp_denorm_src 0
		.amdhsa_exception_fp_ieee_div_zero 0
		.amdhsa_exception_fp_ieee_overflow 0
		.amdhsa_exception_fp_ieee_underflow 0
		.amdhsa_exception_fp_ieee_inexact 0
		.amdhsa_exception_int_div_zero 0
	.end_amdhsa_kernel
	.section	.text._ZN9rocsparse31csrmmnn_row_split_shared_kernelILj256ELj8EfllDF16_DF16_fEEvNS_24const_host_device_scalarIT1_EES3_bbbT3_S4_llPKT2_PKS4_PKT4_PKT5_llPT6_ll16rocsparse_order_21rocsparse_index_base_,"axG",@progbits,_ZN9rocsparse31csrmmnn_row_split_shared_kernelILj256ELj8EfllDF16_DF16_fEEvNS_24const_host_device_scalarIT1_EES3_bbbT3_S4_llPKT2_PKS4_PKT4_PKT5_llPT6_ll16rocsparse_order_21rocsparse_index_base_,comdat
.Lfunc_end14:
	.size	_ZN9rocsparse31csrmmnn_row_split_shared_kernelILj256ELj8EfllDF16_DF16_fEEvNS_24const_host_device_scalarIT1_EES3_bbbT3_S4_llPKT2_PKS4_PKT4_PKT5_llPT6_ll16rocsparse_order_21rocsparse_index_base_, .Lfunc_end14-_ZN9rocsparse31csrmmnn_row_split_shared_kernelILj256ELj8EfllDF16_DF16_fEEvNS_24const_host_device_scalarIT1_EES3_bbbT3_S4_llPKT2_PKS4_PKT4_PKT5_llPT6_ll16rocsparse_order_21rocsparse_index_base_
                                        ; -- End function
	.set _ZN9rocsparse31csrmmnn_row_split_shared_kernelILj256ELj8EfllDF16_DF16_fEEvNS_24const_host_device_scalarIT1_EES3_bbbT3_S4_llPKT2_PKS4_PKT4_PKT5_llPT6_ll16rocsparse_order_21rocsparse_index_base_.num_vgpr, 39
	.set _ZN9rocsparse31csrmmnn_row_split_shared_kernelILj256ELj8EfllDF16_DF16_fEEvNS_24const_host_device_scalarIT1_EES3_bbbT3_S4_llPKT2_PKS4_PKT4_PKT5_llPT6_ll16rocsparse_order_21rocsparse_index_base_.num_agpr, 0
	.set _ZN9rocsparse31csrmmnn_row_split_shared_kernelILj256ELj8EfllDF16_DF16_fEEvNS_24const_host_device_scalarIT1_EES3_bbbT3_S4_llPKT2_PKS4_PKT4_PKT5_llPT6_ll16rocsparse_order_21rocsparse_index_base_.numbered_sgpr, 40
	.set _ZN9rocsparse31csrmmnn_row_split_shared_kernelILj256ELj8EfllDF16_DF16_fEEvNS_24const_host_device_scalarIT1_EES3_bbbT3_S4_llPKT2_PKS4_PKT4_PKT5_llPT6_ll16rocsparse_order_21rocsparse_index_base_.num_named_barrier, 0
	.set _ZN9rocsparse31csrmmnn_row_split_shared_kernelILj256ELj8EfllDF16_DF16_fEEvNS_24const_host_device_scalarIT1_EES3_bbbT3_S4_llPKT2_PKS4_PKT4_PKT5_llPT6_ll16rocsparse_order_21rocsparse_index_base_.private_seg_size, 0
	.set _ZN9rocsparse31csrmmnn_row_split_shared_kernelILj256ELj8EfllDF16_DF16_fEEvNS_24const_host_device_scalarIT1_EES3_bbbT3_S4_llPKT2_PKS4_PKT4_PKT5_llPT6_ll16rocsparse_order_21rocsparse_index_base_.uses_vcc, 1
	.set _ZN9rocsparse31csrmmnn_row_split_shared_kernelILj256ELj8EfllDF16_DF16_fEEvNS_24const_host_device_scalarIT1_EES3_bbbT3_S4_llPKT2_PKS4_PKT4_PKT5_llPT6_ll16rocsparse_order_21rocsparse_index_base_.uses_flat_scratch, 0
	.set _ZN9rocsparse31csrmmnn_row_split_shared_kernelILj256ELj8EfllDF16_DF16_fEEvNS_24const_host_device_scalarIT1_EES3_bbbT3_S4_llPKT2_PKS4_PKT4_PKT5_llPT6_ll16rocsparse_order_21rocsparse_index_base_.has_dyn_sized_stack, 0
	.set _ZN9rocsparse31csrmmnn_row_split_shared_kernelILj256ELj8EfllDF16_DF16_fEEvNS_24const_host_device_scalarIT1_EES3_bbbT3_S4_llPKT2_PKS4_PKT4_PKT5_llPT6_ll16rocsparse_order_21rocsparse_index_base_.has_recursion, 0
	.set _ZN9rocsparse31csrmmnn_row_split_shared_kernelILj256ELj8EfllDF16_DF16_fEEvNS_24const_host_device_scalarIT1_EES3_bbbT3_S4_llPKT2_PKS4_PKT4_PKT5_llPT6_ll16rocsparse_order_21rocsparse_index_base_.has_indirect_call, 0
	.section	.AMDGPU.csdata,"",@progbits
; Kernel info:
; codeLenInByte = 1452
; TotalNumSgprs: 42
; NumVgprs: 39
; ScratchSize: 0
; MemoryBound: 1
; FloatMode: 240
; IeeeMode: 1
; LDSByteSize: 3072 bytes/workgroup (compile time only)
; SGPRBlocks: 0
; VGPRBlocks: 2
; NumSGPRsForWavesPerEU: 42
; NumVGPRsForWavesPerEU: 39
; NamedBarCnt: 0
; Occupancy: 16
; WaveLimiterHint : 0
; COMPUTE_PGM_RSRC2:SCRATCH_EN: 0
; COMPUTE_PGM_RSRC2:USER_SGPR: 2
; COMPUTE_PGM_RSRC2:TRAP_HANDLER: 0
; COMPUTE_PGM_RSRC2:TGID_X_EN: 1
; COMPUTE_PGM_RSRC2:TGID_Y_EN: 1
; COMPUTE_PGM_RSRC2:TGID_Z_EN: 1
; COMPUTE_PGM_RSRC2:TIDIG_COMP_CNT: 0
	.section	.text._ZN9rocsparse31csrmmnn_row_split_shared_kernelILj256ELj8EiiiaaiEEvNS_24const_host_device_scalarIT1_EES3_bbbT3_S4_llPKT2_PKS4_PKT4_PKT5_llPT6_ll16rocsparse_order_21rocsparse_index_base_,"axG",@progbits,_ZN9rocsparse31csrmmnn_row_split_shared_kernelILj256ELj8EiiiaaiEEvNS_24const_host_device_scalarIT1_EES3_bbbT3_S4_llPKT2_PKS4_PKT4_PKT5_llPT6_ll16rocsparse_order_21rocsparse_index_base_,comdat
	.protected	_ZN9rocsparse31csrmmnn_row_split_shared_kernelILj256ELj8EiiiaaiEEvNS_24const_host_device_scalarIT1_EES3_bbbT3_S4_llPKT2_PKS4_PKT4_PKT5_llPT6_ll16rocsparse_order_21rocsparse_index_base_ ; -- Begin function _ZN9rocsparse31csrmmnn_row_split_shared_kernelILj256ELj8EiiiaaiEEvNS_24const_host_device_scalarIT1_EES3_bbbT3_S4_llPKT2_PKS4_PKT4_PKT5_llPT6_ll16rocsparse_order_21rocsparse_index_base_
	.globl	_ZN9rocsparse31csrmmnn_row_split_shared_kernelILj256ELj8EiiiaaiEEvNS_24const_host_device_scalarIT1_EES3_bbbT3_S4_llPKT2_PKS4_PKT4_PKT5_llPT6_ll16rocsparse_order_21rocsparse_index_base_
	.p2align	8
	.type	_ZN9rocsparse31csrmmnn_row_split_shared_kernelILj256ELj8EiiiaaiEEvNS_24const_host_device_scalarIT1_EES3_bbbT3_S4_llPKT2_PKS4_PKT4_PKT5_llPT6_ll16rocsparse_order_21rocsparse_index_base_,@function
_ZN9rocsparse31csrmmnn_row_split_shared_kernelILj256ELj8EiiiaaiEEvNS_24const_host_device_scalarIT1_EES3_bbbT3_S4_llPKT2_PKS4_PKT4_PKT5_llPT6_ll16rocsparse_order_21rocsparse_index_base_: ; @_ZN9rocsparse31csrmmnn_row_split_shared_kernelILj256ELj8EiiiaaiEEvNS_24const_host_device_scalarIT1_EES3_bbbT3_S4_llPKT2_PKS4_PKT4_PKT5_llPT6_ll16rocsparse_order_21rocsparse_index_base_
; %bb.0:
	s_clause 0x1
	s_load_b96 s[20:22], s[0:1], 0x10
	s_load_b128 s[4:7], s[0:1], 0x0
	s_mov_b32 s3, -1
                                        ; implicit-def: $sgpr23
	s_wait_kmcnt 0x0
	s_bitcmp1_b32 s20, 0
	s_cselect_b32 s2, -1, 0
	s_delay_alu instid0(SALU_CYCLE_1) | instskip(NEXT) | instid1(SALU_CYCLE_1)
	s_xor_b32 s2, s2, -1
	s_and_b32 vcc_lo, exec_lo, s2
	s_cbranch_vccnz .LBB15_4
; %bb.1:
	s_and_not1_b32 vcc_lo, exec_lo, s3
	s_cbranch_vccz .LBB15_5
.LBB15_2:
	s_and_b32 vcc_lo, exec_lo, s2
	s_cbranch_vccz .LBB15_6
.LBB15_3:
	s_load_b32 s3, s[6:7], 0x0
	s_cbranch_execz .LBB15_7
	s_branch .LBB15_8
.LBB15_4:
	s_load_b32 s23, s[4:5], 0x0
	s_cbranch_execnz .LBB15_2
.LBB15_5:
	s_wait_kmcnt 0x0
	s_mov_b32 s23, s4
	s_and_b32 vcc_lo, exec_lo, s2
	s_cbranch_vccnz .LBB15_3
.LBB15_6:
                                        ; implicit-def: $sgpr3
.LBB15_7:
	s_wait_kmcnt 0x0
	s_mov_b32 s3, s6
.LBB15_8:
	s_wait_kmcnt 0x0
	s_cmp_eq_u32 s23, 0
	s_cselect_b32 s2, -1, 0
	s_cmp_eq_u32 s3, 1
	s_cselect_b32 s4, -1, 0
	s_delay_alu instid0(SALU_CYCLE_1) | instskip(NEXT) | instid1(SALU_CYCLE_1)
	s_and_b32 s2, s2, s4
	s_and_b32 vcc_lo, exec_lo, s2
	s_cbranch_vccnz .LBB15_25
; %bb.9:
	s_bfe_u32 s2, ttmp6, 0x4000c
	s_and_b32 s4, ttmp6, 15
	s_add_co_i32 s2, s2, 1
	s_delay_alu instid0(SALU_CYCLE_1) | instskip(SKIP_4) | instid1(SALU_CYCLE_1)
	s_mul_i32 s5, ttmp9, s2
	s_getreg_b32 s2, hwreg(HW_REG_IB_STS2, 6, 4)
	s_add_co_i32 s4, s4, s5
	s_cmp_eq_u32 s2, 0
	s_cselect_b32 s4, ttmp9, s4
	v_lshl_or_b32 v1, s4, 8, v0
	s_mov_b32 s4, exec_lo
	s_delay_alu instid0(VALU_DEP_1) | instskip(NEXT) | instid1(VALU_DEP_1)
	v_lshrrev_b32_e32 v2, 3, v1
	v_cmpx_gt_i32_e64 s21, v2
	s_cbranch_execz .LBB15_25
; %bb.10:
	s_load_b512 s[4:19], s[0:1], 0x20
	s_bfe_u32 s21, ttmp6, 0x40014
	s_bfe_u32 s26, ttmp6, 0x40010
	s_lshr_b32 s20, ttmp7, 16
	s_and_b32 s25, ttmp7, 0xffff
	s_add_co_i32 s21, s21, 1
	s_add_co_i32 s26, s26, 1
	s_bfe_u32 s24, ttmp6, 0x40008
	s_bfe_u32 s27, ttmp6, 0x40004
	s_mul_i32 s21, s20, s21
	s_mul_i32 s26, s25, s26
	s_add_co_i32 s24, s24, s21
	s_add_co_i32 s27, s27, s26
	s_cmp_eq_u32 s2, 0
	s_mov_b32 s21, 0
	s_cselect_b32 s20, s20, s24
	v_dual_lshlrev_b32 v1, 2, v2 :: v_dual_bitop2_b32 v8, 7, v0 bitop3:0x40
	s_cselect_b32 s2, s25, s27
	s_mov_b32 s24, exec_lo
	s_wait_kmcnt 0x0
	s_mul_u64 s[4:5], s[4:5], s[20:21]
	v_lshl_or_b32 v4, s2, 3, v8
	s_lshl_b64 s[4:5], s[4:5], 2
	v_mov_b32_e32 v3, 0
	s_add_nc_u64 s[4:5], s[8:9], s[4:5]
	s_load_b64 s[8:9], s[0:1], 0x78
	global_load_b64 v[6:7], v1, s[4:5]
	v_dual_ashrrev_i32 v5, 31, v4 :: v_dual_mov_b32 v9, v3
	s_wait_loadcnt 0x0
	v_cmpx_lt_i32_e64 v6, v7
	s_cbranch_execz .LBB15_18
; %bb.11:
	v_mad_nc_u64_u32 v[10:11], s16, v4, s[14:15]
	v_lshlrev_b32_e32 v9, 2, v0
	s_wait_kmcnt 0x0
	v_subrev_nc_u32_e32 v12, s9, v7
	v_subrev_nc_u32_e32 v13, s9, v6
	s_mul_u64 s[4:5], s[6:7], s[20:21]
	s_mov_b32 s6, s21
	v_cmp_gt_i32_e32 vcc_lo, s22, v4
	v_mad_u32 v1, s17, v4, v11
	s_delay_alu instid0(VALU_DEP_1) | instskip(NEXT) | instid1(VALU_DEP_1)
	v_mad_u32 v11, s16, v5, v1
	v_mad_nc_u64_u32 v[0:1], s18, s20, v[10:11]
	v_and_b32_e32 v10, 0x3e0, v9
	v_lshlrev_b32_e32 v9, 2, v8
	s_delay_alu instid0(VALU_DEP_2) | instskip(NEXT) | instid1(VALU_DEP_2)
	v_or_b32_e32 v11, 0x400, v10
	v_or_b32_e32 v14, v10, v9
	s_delay_alu instid0(VALU_DEP_2)
	v_or_b32_e32 v15, v11, v9
	v_mad_u32 v1, s19, s20, v1
	v_mov_b32_e32 v9, v3
	s_branch .LBB15_13
.LBB15_12:                              ;   in Loop: Header=BB15_13 Depth=1
	s_or_b32 exec_lo, exec_lo, s2
	v_add_nc_u32_e32 v13, 8, v13
	s_delay_alu instid0(VALU_DEP_1) | instskip(SKIP_1) | instid1(SALU_CYCLE_1)
	v_cmp_ge_i32_e64 s2, v13, v12
	s_or_b32 s6, s2, s6
	s_and_not1_b32 exec_lo, exec_lo, s6
	s_cbranch_execz .LBB15_17
.LBB15_13:                              ; =>This Inner Loop Header: Depth=1
	v_dual_add_nc_u32 v6, v8, v13 :: v_dual_mov_b32 v16, 0
	v_mov_b32_e32 v7, 0
	s_mov_b32 s7, exec_lo
	s_barrier_signal -1
	s_barrier_wait -1
	v_cmpx_lt_i32_e64 v6, v12
	s_cbranch_execz .LBB15_15
; %bb.14:                               ;   in Loop: Header=BB15_13 Depth=1
	v_ashrrev_i32_e32 v7, 31, v6
	s_delay_alu instid0(VALU_DEP_1) | instskip(NEXT) | instid1(VALU_DEP_1)
	v_add_nc_u64_e32 v[6:7], s[4:5], v[6:7]
	v_add_nc_u64_e32 v[18:19], s[12:13], v[6:7]
	v_lshl_add_u64 v[16:17], v[6:7], 2, s[10:11]
	global_load_b32 v6, v[16:17], off
	global_load_i8 v7, v[18:19], off
	s_wait_loadcnt 0x1
	s_wait_xcnt 0x1
	v_subrev_nc_u32_e32 v16, s9, v6
.LBB15_15:                              ;   in Loop: Header=BB15_13 Depth=1
	s_wait_xcnt 0x0
	s_or_b32 exec_lo, exec_lo, s7
	ds_store_b32 v14, v16
	s_wait_loadcnt 0x0
	ds_store_b32 v15, v7
	s_wait_dscnt 0x0
	s_barrier_signal -1
	s_barrier_wait -1
	s_and_saveexec_b32 s2, vcc_lo
	s_cbranch_execz .LBB15_12
; %bb.16:                               ;   in Loop: Header=BB15_13 Depth=1
	ds_load_b128 v[16:19], v10
	ds_load_b128 v[20:23], v10 offset:16
	s_wait_dscnt 0x1
	v_dual_mov_b32 v6, v16 :: v_dual_ashrrev_i32 v7, 31, v16
	v_dual_mov_b32 v24, v17 :: v_dual_ashrrev_i32 v25, 31, v17
	;; [unrolled: 1-line block ×3, first 2 shown]
	s_delay_alu instid0(VALU_DEP_3)
	v_add_nc_u64_e32 v[6:7], v[0:1], v[6:7]
	global_load_i8 v26, v[6:7], off
	s_wait_xcnt 0x0
	v_add_nc_u64_e32 v[6:7], v[0:1], v[24:25]
	global_load_i8 v24, v[6:7], off
	s_wait_xcnt 0x0
	v_add_nc_u64_e32 v[6:7], v[0:1], v[16:17]
	v_dual_mov_b32 v16, v19 :: v_dual_ashrrev_i32 v17, 31, v19
	global_load_i8 v25, v[6:7], off
	s_wait_xcnt 0x0
	v_add_nc_u64_e32 v[6:7], v[0:1], v[16:17]
	s_wait_dscnt 0x0
	v_dual_mov_b32 v16, v20 :: v_dual_ashrrev_i32 v17, 31, v20
	global_load_i8 v27, v[6:7], off
	s_wait_xcnt 0x0
	v_add_nc_u64_e32 v[6:7], v[0:1], v[16:17]
	v_dual_mov_b32 v16, v21 :: v_dual_ashrrev_i32 v17, 31, v21
	global_load_i8 v28, v[6:7], off
	s_wait_xcnt 0x0
	v_add_nc_u64_e32 v[6:7], v[0:1], v[16:17]
	;; [unrolled: 4-line block ×4, first 2 shown]
	global_load_i8 v6, v[6:7], off
	ds_load_b128 v[16:19], v11
	ds_load_b128 v[20:23], v11 offset:16
	s_wait_loadcnt_dscnt 0x701
	s_wait_xcnt 0x0
	v_mad_u32 v7, v16, v26, v9
	s_wait_loadcnt 0x6
	s_delay_alu instid0(VALU_DEP_1) | instskip(SKIP_1) | instid1(VALU_DEP_1)
	v_mad_u32 v7, v17, v24, v7
	s_wait_loadcnt 0x5
	v_mad_u32 v7, v18, v25, v7
	s_wait_loadcnt 0x4
	s_delay_alu instid0(VALU_DEP_1) | instskip(SKIP_1) | instid1(VALU_DEP_1)
	v_mad_u32 v7, v19, v27, v7
	s_wait_loadcnt_dscnt 0x300
	v_mad_u32 v7, v20, v28, v7
	s_wait_loadcnt 0x2
	s_delay_alu instid0(VALU_DEP_1) | instskip(SKIP_1) | instid1(VALU_DEP_1)
	v_mad_u32 v7, v21, v29, v7
	s_wait_loadcnt 0x1
	v_mad_u32 v7, v22, v30, v7
	s_wait_loadcnt 0x0
	s_delay_alu instid0(VALU_DEP_1)
	v_mad_u32 v9, v23, v6, v7
	s_branch .LBB15_12
.LBB15_17:
	s_or_b32 exec_lo, exec_lo, s6
.LBB15_18:
	s_delay_alu instid0(SALU_CYCLE_1)
	s_or_b32 exec_lo, exec_lo, s24
	v_cmp_gt_i32_e32 vcc_lo, s22, v4
	s_and_b32 exec_lo, exec_lo, vcc_lo
	s_cbranch_execz .LBB15_25
; %bb.19:
	s_clause 0x1
	s_load_b64 s[10:11], s[0:1], 0x70
	s_load_b128 s[4:7], s[0:1], 0x60
	v_mul_lo_u32 v0, v9, s23
	s_wait_kmcnt 0x0
	s_cmp_lg_u32 s8, 1
	s_cselect_b32 s2, -1, 0
	s_cmp_lg_u32 s3, 0
	s_mul_u64 s[0:1], s[10:11], s[20:21]
	s_cbranch_scc0 .LBB15_26
; %bb.20:
	s_and_b32 vcc_lo, exec_lo, s2
	s_mov_b32 s8, -1
	s_cbranch_vccz .LBB15_22
; %bb.21:
	v_mul_u64_e32 v[6:7], s[6:7], v[2:3]
	s_mov_b32 s8, 0
	s_delay_alu instid0(VALU_DEP_1) | instskip(NEXT) | instid1(VALU_DEP_1)
	v_lshl_add_u64 v[6:7], v[6:7], 2, s[4:5]
	v_lshl_add_u64 v[6:7], v[4:5], 2, v[6:7]
	s_delay_alu instid0(VALU_DEP_1)
	v_lshl_add_u64 v[6:7], s[0:1], 2, v[6:7]
	global_load_b32 v1, v[6:7], off
	s_wait_loadcnt 0x0
	v_mad_u32 v1, v1, s3, v0
	global_store_b32 v[6:7], v1, off
.LBB15_22:
	s_and_not1_b32 vcc_lo, exec_lo, s8
	s_cbranch_vccnz .LBB15_24
; %bb.23:
	s_wait_xcnt 0x0
	v_mul_u64_e32 v[6:7], s[6:7], v[4:5]
	v_dual_mov_b32 v9, 0 :: v_dual_lshlrev_b32 v8, 2, v2
	s_delay_alu instid0(VALU_DEP_2) | instskip(NEXT) | instid1(VALU_DEP_1)
	v_lshl_add_u64 v[6:7], v[6:7], 2, s[4:5]
	v_add_nc_u64_e32 v[6:7], v[6:7], v[8:9]
	s_delay_alu instid0(VALU_DEP_1)
	v_lshl_add_u64 v[6:7], s[0:1], 2, v[6:7]
	global_load_b32 v1, v[6:7], off
	s_wait_loadcnt 0x0
	v_mad_u32 v1, v1, s3, v0
	global_store_b32 v[6:7], v1, off
.LBB15_24:
	s_cbranch_execz .LBB15_27
.LBB15_25:
	s_endpgm
.LBB15_26:
.LBB15_27:
	s_and_b32 vcc_lo, exec_lo, s2
	s_mov_b32 s2, -1
	s_cbranch_vccz .LBB15_29
; %bb.28:
	s_wait_xcnt 0x0
	v_mul_u64_e32 v[6:7], s[6:7], v[2:3]
	s_mov_b32 s2, 0
	s_delay_alu instid0(VALU_DEP_1) | instskip(NEXT) | instid1(VALU_DEP_1)
	v_lshl_add_u64 v[6:7], v[6:7], 2, s[4:5]
	v_lshl_add_u64 v[6:7], v[4:5], 2, v[6:7]
	s_delay_alu instid0(VALU_DEP_1)
	v_lshl_add_u64 v[6:7], s[0:1], 2, v[6:7]
	global_store_b32 v[6:7], v0, off
.LBB15_29:
	s_and_not1_b32 vcc_lo, exec_lo, s2
	s_cbranch_vccnz .LBB15_25
; %bb.30:
	v_mul_u64_e32 v[4:5], s[6:7], v[4:5]
	v_dual_mov_b32 v3, 0 :: v_dual_lshlrev_b32 v2, 2, v2
	s_delay_alu instid0(VALU_DEP_2) | instskip(NEXT) | instid1(VALU_DEP_1)
	v_lshl_add_u64 v[4:5], v[4:5], 2, s[4:5]
	v_add_nc_u64_e32 v[2:3], v[4:5], v[2:3]
	s_delay_alu instid0(VALU_DEP_1)
	v_lshl_add_u64 v[2:3], s[0:1], 2, v[2:3]
	global_store_b32 v[2:3], v0, off
	s_endpgm
	.section	.rodata,"a",@progbits
	.p2align	6, 0x0
	.amdhsa_kernel _ZN9rocsparse31csrmmnn_row_split_shared_kernelILj256ELj8EiiiaaiEEvNS_24const_host_device_scalarIT1_EES3_bbbT3_S4_llPKT2_PKS4_PKT4_PKT5_llPT6_ll16rocsparse_order_21rocsparse_index_base_
		.amdhsa_group_segment_fixed_size 2048
		.amdhsa_private_segment_fixed_size 0
		.amdhsa_kernarg_size 128
		.amdhsa_user_sgpr_count 2
		.amdhsa_user_sgpr_dispatch_ptr 0
		.amdhsa_user_sgpr_queue_ptr 0
		.amdhsa_user_sgpr_kernarg_segment_ptr 1
		.amdhsa_user_sgpr_dispatch_id 0
		.amdhsa_user_sgpr_kernarg_preload_length 0
		.amdhsa_user_sgpr_kernarg_preload_offset 0
		.amdhsa_user_sgpr_private_segment_size 0
		.amdhsa_wavefront_size32 1
		.amdhsa_uses_dynamic_stack 0
		.amdhsa_enable_private_segment 0
		.amdhsa_system_sgpr_workgroup_id_x 1
		.amdhsa_system_sgpr_workgroup_id_y 1
		.amdhsa_system_sgpr_workgroup_id_z 1
		.amdhsa_system_sgpr_workgroup_info 0
		.amdhsa_system_vgpr_workitem_id 0
		.amdhsa_next_free_vgpr 31
		.amdhsa_next_free_sgpr 28
		.amdhsa_named_barrier_count 0
		.amdhsa_reserve_vcc 1
		.amdhsa_float_round_mode_32 0
		.amdhsa_float_round_mode_16_64 0
		.amdhsa_float_denorm_mode_32 3
		.amdhsa_float_denorm_mode_16_64 3
		.amdhsa_fp16_overflow 0
		.amdhsa_memory_ordered 1
		.amdhsa_forward_progress 1
		.amdhsa_inst_pref_size 12
		.amdhsa_round_robin_scheduling 0
		.amdhsa_exception_fp_ieee_invalid_op 0
		.amdhsa_exception_fp_denorm_src 0
		.amdhsa_exception_fp_ieee_div_zero 0
		.amdhsa_exception_fp_ieee_overflow 0
		.amdhsa_exception_fp_ieee_underflow 0
		.amdhsa_exception_fp_ieee_inexact 0
		.amdhsa_exception_int_div_zero 0
	.end_amdhsa_kernel
	.section	.text._ZN9rocsparse31csrmmnn_row_split_shared_kernelILj256ELj8EiiiaaiEEvNS_24const_host_device_scalarIT1_EES3_bbbT3_S4_llPKT2_PKS4_PKT4_PKT5_llPT6_ll16rocsparse_order_21rocsparse_index_base_,"axG",@progbits,_ZN9rocsparse31csrmmnn_row_split_shared_kernelILj256ELj8EiiiaaiEEvNS_24const_host_device_scalarIT1_EES3_bbbT3_S4_llPKT2_PKS4_PKT4_PKT5_llPT6_ll16rocsparse_order_21rocsparse_index_base_,comdat
.Lfunc_end15:
	.size	_ZN9rocsparse31csrmmnn_row_split_shared_kernelILj256ELj8EiiiaaiEEvNS_24const_host_device_scalarIT1_EES3_bbbT3_S4_llPKT2_PKS4_PKT4_PKT5_llPT6_ll16rocsparse_order_21rocsparse_index_base_, .Lfunc_end15-_ZN9rocsparse31csrmmnn_row_split_shared_kernelILj256ELj8EiiiaaiEEvNS_24const_host_device_scalarIT1_EES3_bbbT3_S4_llPKT2_PKS4_PKT4_PKT5_llPT6_ll16rocsparse_order_21rocsparse_index_base_
                                        ; -- End function
	.set _ZN9rocsparse31csrmmnn_row_split_shared_kernelILj256ELj8EiiiaaiEEvNS_24const_host_device_scalarIT1_EES3_bbbT3_S4_llPKT2_PKS4_PKT4_PKT5_llPT6_ll16rocsparse_order_21rocsparse_index_base_.num_vgpr, 31
	.set _ZN9rocsparse31csrmmnn_row_split_shared_kernelILj256ELj8EiiiaaiEEvNS_24const_host_device_scalarIT1_EES3_bbbT3_S4_llPKT2_PKS4_PKT4_PKT5_llPT6_ll16rocsparse_order_21rocsparse_index_base_.num_agpr, 0
	.set _ZN9rocsparse31csrmmnn_row_split_shared_kernelILj256ELj8EiiiaaiEEvNS_24const_host_device_scalarIT1_EES3_bbbT3_S4_llPKT2_PKS4_PKT4_PKT5_llPT6_ll16rocsparse_order_21rocsparse_index_base_.numbered_sgpr, 28
	.set _ZN9rocsparse31csrmmnn_row_split_shared_kernelILj256ELj8EiiiaaiEEvNS_24const_host_device_scalarIT1_EES3_bbbT3_S4_llPKT2_PKS4_PKT4_PKT5_llPT6_ll16rocsparse_order_21rocsparse_index_base_.num_named_barrier, 0
	.set _ZN9rocsparse31csrmmnn_row_split_shared_kernelILj256ELj8EiiiaaiEEvNS_24const_host_device_scalarIT1_EES3_bbbT3_S4_llPKT2_PKS4_PKT4_PKT5_llPT6_ll16rocsparse_order_21rocsparse_index_base_.private_seg_size, 0
	.set _ZN9rocsparse31csrmmnn_row_split_shared_kernelILj256ELj8EiiiaaiEEvNS_24const_host_device_scalarIT1_EES3_bbbT3_S4_llPKT2_PKS4_PKT4_PKT5_llPT6_ll16rocsparse_order_21rocsparse_index_base_.uses_vcc, 1
	.set _ZN9rocsparse31csrmmnn_row_split_shared_kernelILj256ELj8EiiiaaiEEvNS_24const_host_device_scalarIT1_EES3_bbbT3_S4_llPKT2_PKS4_PKT4_PKT5_llPT6_ll16rocsparse_order_21rocsparse_index_base_.uses_flat_scratch, 0
	.set _ZN9rocsparse31csrmmnn_row_split_shared_kernelILj256ELj8EiiiaaiEEvNS_24const_host_device_scalarIT1_EES3_bbbT3_S4_llPKT2_PKS4_PKT4_PKT5_llPT6_ll16rocsparse_order_21rocsparse_index_base_.has_dyn_sized_stack, 0
	.set _ZN9rocsparse31csrmmnn_row_split_shared_kernelILj256ELj8EiiiaaiEEvNS_24const_host_device_scalarIT1_EES3_bbbT3_S4_llPKT2_PKS4_PKT4_PKT5_llPT6_ll16rocsparse_order_21rocsparse_index_base_.has_recursion, 0
	.set _ZN9rocsparse31csrmmnn_row_split_shared_kernelILj256ELj8EiiiaaiEEvNS_24const_host_device_scalarIT1_EES3_bbbT3_S4_llPKT2_PKS4_PKT4_PKT5_llPT6_ll16rocsparse_order_21rocsparse_index_base_.has_indirect_call, 0
	.section	.AMDGPU.csdata,"",@progbits
; Kernel info:
; codeLenInByte = 1484
; TotalNumSgprs: 30
; NumVgprs: 31
; ScratchSize: 0
; MemoryBound: 0
; FloatMode: 240
; IeeeMode: 1
; LDSByteSize: 2048 bytes/workgroup (compile time only)
; SGPRBlocks: 0
; VGPRBlocks: 1
; NumSGPRsForWavesPerEU: 30
; NumVGPRsForWavesPerEU: 31
; NamedBarCnt: 0
; Occupancy: 16
; WaveLimiterHint : 1
; COMPUTE_PGM_RSRC2:SCRATCH_EN: 0
; COMPUTE_PGM_RSRC2:USER_SGPR: 2
; COMPUTE_PGM_RSRC2:TRAP_HANDLER: 0
; COMPUTE_PGM_RSRC2:TGID_X_EN: 1
; COMPUTE_PGM_RSRC2:TGID_Y_EN: 1
; COMPUTE_PGM_RSRC2:TGID_Z_EN: 1
; COMPUTE_PGM_RSRC2:TIDIG_COMP_CNT: 0
	.section	.text._ZN9rocsparse31csrmmnn_row_split_shared_kernelILj256ELj8EiliaaiEEvNS_24const_host_device_scalarIT1_EES3_bbbT3_S4_llPKT2_PKS4_PKT4_PKT5_llPT6_ll16rocsparse_order_21rocsparse_index_base_,"axG",@progbits,_ZN9rocsparse31csrmmnn_row_split_shared_kernelILj256ELj8EiliaaiEEvNS_24const_host_device_scalarIT1_EES3_bbbT3_S4_llPKT2_PKS4_PKT4_PKT5_llPT6_ll16rocsparse_order_21rocsparse_index_base_,comdat
	.protected	_ZN9rocsparse31csrmmnn_row_split_shared_kernelILj256ELj8EiliaaiEEvNS_24const_host_device_scalarIT1_EES3_bbbT3_S4_llPKT2_PKS4_PKT4_PKT5_llPT6_ll16rocsparse_order_21rocsparse_index_base_ ; -- Begin function _ZN9rocsparse31csrmmnn_row_split_shared_kernelILj256ELj8EiliaaiEEvNS_24const_host_device_scalarIT1_EES3_bbbT3_S4_llPKT2_PKS4_PKT4_PKT5_llPT6_ll16rocsparse_order_21rocsparse_index_base_
	.globl	_ZN9rocsparse31csrmmnn_row_split_shared_kernelILj256ELj8EiliaaiEEvNS_24const_host_device_scalarIT1_EES3_bbbT3_S4_llPKT2_PKS4_PKT4_PKT5_llPT6_ll16rocsparse_order_21rocsparse_index_base_
	.p2align	8
	.type	_ZN9rocsparse31csrmmnn_row_split_shared_kernelILj256ELj8EiliaaiEEvNS_24const_host_device_scalarIT1_EES3_bbbT3_S4_llPKT2_PKS4_PKT4_PKT5_llPT6_ll16rocsparse_order_21rocsparse_index_base_,@function
_ZN9rocsparse31csrmmnn_row_split_shared_kernelILj256ELj8EiliaaiEEvNS_24const_host_device_scalarIT1_EES3_bbbT3_S4_llPKT2_PKS4_PKT4_PKT5_llPT6_ll16rocsparse_order_21rocsparse_index_base_: ; @_ZN9rocsparse31csrmmnn_row_split_shared_kernelILj256ELj8EiliaaiEEvNS_24const_host_device_scalarIT1_EES3_bbbT3_S4_llPKT2_PKS4_PKT4_PKT5_llPT6_ll16rocsparse_order_21rocsparse_index_base_
; %bb.0:
	s_clause 0x1
	s_load_b96 s[20:22], s[0:1], 0x10
	s_load_b128 s[4:7], s[0:1], 0x0
	s_mov_b32 s3, -1
                                        ; implicit-def: $sgpr23
	s_wait_kmcnt 0x0
	s_bitcmp1_b32 s20, 0
	s_cselect_b32 s2, -1, 0
	s_delay_alu instid0(SALU_CYCLE_1) | instskip(NEXT) | instid1(SALU_CYCLE_1)
	s_xor_b32 s2, s2, -1
	s_and_b32 vcc_lo, exec_lo, s2
	s_cbranch_vccnz .LBB16_4
; %bb.1:
	s_and_not1_b32 vcc_lo, exec_lo, s3
	s_cbranch_vccz .LBB16_5
.LBB16_2:
	s_and_b32 vcc_lo, exec_lo, s2
	s_cbranch_vccz .LBB16_6
.LBB16_3:
	s_load_b32 s3, s[6:7], 0x0
	s_cbranch_execz .LBB16_7
	s_branch .LBB16_8
.LBB16_4:
	s_load_b32 s23, s[4:5], 0x0
	s_cbranch_execnz .LBB16_2
.LBB16_5:
	s_wait_kmcnt 0x0
	s_mov_b32 s23, s4
	s_and_b32 vcc_lo, exec_lo, s2
	s_cbranch_vccnz .LBB16_3
.LBB16_6:
                                        ; implicit-def: $sgpr3
.LBB16_7:
	s_wait_kmcnt 0x0
	s_mov_b32 s3, s6
.LBB16_8:
	s_wait_kmcnt 0x0
	s_cmp_eq_u32 s23, 0
	s_cselect_b32 s2, -1, 0
	s_cmp_eq_u32 s3, 1
	s_cselect_b32 s4, -1, 0
	s_delay_alu instid0(SALU_CYCLE_1) | instskip(NEXT) | instid1(SALU_CYCLE_1)
	s_and_b32 s2, s2, s4
	s_and_b32 vcc_lo, exec_lo, s2
	s_cbranch_vccnz .LBB16_25
; %bb.9:
	s_bfe_u32 s2, ttmp6, 0x4000c
	s_and_b32 s4, ttmp6, 15
	s_add_co_i32 s2, s2, 1
	s_delay_alu instid0(SALU_CYCLE_1) | instskip(SKIP_4) | instid1(SALU_CYCLE_1)
	s_mul_i32 s5, ttmp9, s2
	s_getreg_b32 s2, hwreg(HW_REG_IB_STS2, 6, 4)
	s_add_co_i32 s4, s4, s5
	s_cmp_eq_u32 s2, 0
	s_cselect_b32 s4, ttmp9, s4
	v_lshl_or_b32 v1, s4, 8, v0
	s_mov_b32 s4, exec_lo
	s_delay_alu instid0(VALU_DEP_1) | instskip(NEXT) | instid1(VALU_DEP_1)
	v_lshrrev_b32_e32 v6, 3, v1
	v_cmpx_gt_i32_e64 s21, v6
	s_cbranch_execz .LBB16_25
; %bb.10:
	s_load_b512 s[4:19], s[0:1], 0x20
	s_bfe_u32 s20, ttmp6, 0x40014
	s_bfe_u32 s21, ttmp6, 0x40010
	s_lshr_b32 s24, ttmp7, 16
	s_add_co_i32 s20, s20, 1
	s_and_b32 s25, ttmp7, 0xffff
	s_add_co_i32 s21, s21, 1
	s_mul_i32 s20, s24, s20
	s_bfe_u32 s26, ttmp6, 0x40008
	s_mul_i32 s21, s25, s21
	s_bfe_u32 s27, ttmp6, 0x40004
	s_add_co_i32 s26, s26, s20
	s_add_co_i32 s27, s27, s21
	s_cmp_eq_u32 s2, 0
	s_mov_b32 s21, 0
	s_cselect_b32 s20, s24, s26
	v_dual_lshlrev_b32 v1, 3, v6 :: v_dual_bitop2_b32 v10, 7, v0 bitop3:0x40
	s_cselect_b32 s2, s25, s27
	s_wait_kmcnt 0x0
	s_mul_u64 s[4:5], s[4:5], s[20:21]
	s_delay_alu instid0(VALU_DEP_1)
	v_lshl_or_b32 v8, s2, 3, v10
	s_lshl_b64 s[4:5], s[4:5], 3
	v_mov_b32_e32 v7, 0
	s_add_nc_u64 s[4:5], s[8:9], s[4:5]
	s_load_b64 s[8:9], s[0:1], 0x78
	global_load_b128 v[2:5], v1, s[4:5]
	v_dual_mov_b32 v16, v7 :: v_dual_ashrrev_i32 v9, 31, v8
	s_wait_xcnt 0x0
	s_mov_b32 s4, exec_lo
	s_wait_loadcnt 0x0
	v_cmpx_lt_i64_e64 v[2:3], v[4:5]
	s_cbranch_execz .LBB16_18
; %bb.11:
	v_mad_nc_u64_u32 v[12:13], s16, v8, s[14:15]
	v_mad_nc_u64_u32 v[14:15], s6, s20, v[2:3]
	v_dual_mov_b32 v11, v7 :: v_dual_lshlrev_b32 v16, 2, v0
	s_wait_kmcnt 0x0
	s_mov_b32 s14, s9
	s_mov_b32 s15, s21
	;; [unrolled: 1-line block ×3, first 2 shown]
	v_and_b32_e32 v17, 0x3e0, v16
	v_lshlrev_b32_e32 v16, 2, v10
	v_sub_nc_u64_e64 v[4:5], v[4:5], s[14:15]
	v_sub_nc_u64_e64 v[2:3], v[2:3], s[14:15]
	v_mad_u32 v1, s17, v8, v13
	v_mad_u32 v15, s7, s20, v15
	s_mul_u64 s[6:7], s[6:7], s[20:21]
	v_or_b32_e32 v18, 0x400, v17
	s_add_nc_u64 s[6:7], s[12:13], s[6:7]
	v_or_b32_e32 v19, v17, v16
	v_cmp_gt_i32_e32 vcc_lo, s22, v8
	s_delay_alu instid0(VALU_DEP_3) | instskip(SKIP_1) | instid1(VALU_DEP_1)
	v_dual_mov_b32 v16, v7 :: v_dual_bitop2_b32 v20, v18, v16 bitop3:0x54
	v_mad_u32 v13, s16, v9, v1
	v_mad_nc_u64_u32 v[0:1], s18, s20, v[12:13]
	v_add_nc_u64_e32 v[12:13], v[14:15], v[10:11]
	s_delay_alu instid0(VALU_DEP_1) | instskip(SKIP_1) | instid1(VALU_DEP_4)
	v_sub_nc_u64_e64 v[14:15], v[12:13], s[14:15]
	v_add_nc_u64_e32 v[12:13], s[6:7], v[10:11]
	v_mad_u32 v1, s19, s20, v1
	s_delay_alu instid0(VALU_DEP_3)
	v_lshl_add_u64 v[14:15], v[14:15], 2, s[10:11]
	s_branch .LBB16_13
.LBB16_12:                              ;   in Loop: Header=BB16_13 Depth=1
	s_or_b32 exec_lo, exec_lo, s2
	v_add_nc_u64_e32 v[2:3], 8, v[2:3]
	v_add_nc_u64_e32 v[14:15], 32, v[14:15]
	s_delay_alu instid0(VALU_DEP_2) | instskip(SKIP_1) | instid1(SALU_CYCLE_1)
	v_cmp_ge_i64_e64 s2, v[2:3], v[4:5]
	s_or_b32 s5, s2, s5
	s_and_not1_b32 exec_lo, exec_lo, s5
	s_cbranch_execz .LBB16_17
.LBB16_13:                              ; =>This Inner Loop Header: Depth=1
	v_add_nc_u64_e32 v[22:23], v[10:11], v[2:3]
	s_barrier_signal -1
	s_barrier_wait -1
	v_mov_b32_e32 v21, 0
	s_delay_alu instid0(VALU_DEP_2)
	v_cmp_lt_i64_e64 s2, v[22:23], v[4:5]
	v_mov_b32_e32 v22, 0
	s_and_saveexec_b32 s6, s2
	s_cbranch_execz .LBB16_15
; %bb.14:                               ;   in Loop: Header=BB16_13 Depth=1
	v_add_nc_u64_e32 v[22:23], v[12:13], v[2:3]
	global_load_b32 v24, v[14:15], off
	global_load_i8 v21, v[22:23], off
	s_wait_loadcnt 0x1
	s_wait_xcnt 0x0
	v_subrev_nc_u32_e32 v22, s9, v24
.LBB16_15:                              ;   in Loop: Header=BB16_13 Depth=1
	s_or_b32 exec_lo, exec_lo, s6
	ds_store_b32 v19, v22
	s_wait_loadcnt 0x0
	ds_store_b32 v20, v21
	s_wait_dscnt 0x0
	s_barrier_signal -1
	s_barrier_wait -1
	s_and_saveexec_b32 s2, vcc_lo
	s_cbranch_execz .LBB16_12
; %bb.16:                               ;   in Loop: Header=BB16_13 Depth=1
	ds_load_b128 v[22:25], v17
	ds_load_b128 v[26:29], v17 offset:16
	s_wait_dscnt 0x1
	v_dual_mov_b32 v30, v22 :: v_dual_ashrrev_i32 v31, 31, v22
	v_dual_mov_b32 v32, v23 :: v_dual_ashrrev_i32 v33, 31, v23
	s_delay_alu instid0(VALU_DEP_2) | instskip(NEXT) | instid1(VALU_DEP_2)
	v_add_nc_u64_e32 v[30:31], v[0:1], v[30:31]
	v_add_nc_u64_e32 v[22:23], v[0:1], v[32:33]
	s_clause 0x1
	global_load_i8 v21, v[30:31], off
	global_load_i8 v32, v[22:23], off
	s_wait_xcnt 0x1
	v_dual_mov_b32 v30, v24 :: v_dual_ashrrev_i32 v31, 31, v24
	s_wait_dscnt 0x0
	v_mov_b32_e32 v24, v26
	s_wait_xcnt 0x0
	s_delay_alu instid0(VALU_DEP_2)
	v_add_nc_u64_e32 v[22:23], v[0:1], v[30:31]
	v_dual_mov_b32 v30, v25 :: v_dual_ashrrev_i32 v31, 31, v25
	v_ashrrev_i32_e32 v25, 31, v26
	global_load_i8 v33, v[22:23], off
	s_wait_xcnt 0x0
	v_add_nc_u64_e32 v[22:23], v[0:1], v[30:31]
	global_load_i8 v30, v[22:23], off
	s_wait_xcnt 0x0
	v_add_nc_u64_e32 v[22:23], v[0:1], v[24:25]
	v_dual_mov_b32 v24, v27 :: v_dual_ashrrev_i32 v25, 31, v27
	global_load_i8 v31, v[22:23], off
	s_wait_xcnt 0x0
	v_add_nc_u64_e32 v[22:23], v[0:1], v[24:25]
	v_dual_mov_b32 v24, v28 :: v_dual_ashrrev_i32 v25, 31, v28
	;; [unrolled: 4-line block ×3, first 2 shown]
	global_load_i8 v35, v[22:23], off
	s_wait_xcnt 0x0
	v_add_nc_u64_e32 v[22:23], v[0:1], v[24:25]
	global_load_i8 v36, v[22:23], off
	s_wait_xcnt 0x0
	ds_load_b128 v[22:25], v18
	ds_load_b128 v[26:29], v18 offset:16
	s_wait_loadcnt_dscnt 0x701
	v_mad_u32 v16, v22, v21, v16
	s_wait_loadcnt 0x6
	s_delay_alu instid0(VALU_DEP_1) | instskip(SKIP_1) | instid1(VALU_DEP_1)
	v_mad_u32 v16, v23, v32, v16
	s_wait_loadcnt 0x5
	v_mad_u32 v16, v24, v33, v16
	s_wait_loadcnt 0x4
	s_delay_alu instid0(VALU_DEP_1) | instskip(SKIP_1) | instid1(VALU_DEP_1)
	v_mad_u32 v16, v25, v30, v16
	s_wait_loadcnt_dscnt 0x300
	v_mad_u32 v16, v26, v31, v16
	s_wait_loadcnt 0x2
	s_delay_alu instid0(VALU_DEP_1) | instskip(SKIP_1) | instid1(VALU_DEP_1)
	v_mad_u32 v16, v27, v34, v16
	s_wait_loadcnt 0x1
	v_mad_u32 v16, v28, v35, v16
	s_wait_loadcnt 0x0
	s_delay_alu instid0(VALU_DEP_1)
	v_mad_u32 v16, v29, v36, v16
	s_branch .LBB16_12
.LBB16_17:
	s_or_b32 exec_lo, exec_lo, s5
.LBB16_18:
	s_delay_alu instid0(SALU_CYCLE_1)
	s_or_b32 exec_lo, exec_lo, s4
	v_cmp_gt_i32_e32 vcc_lo, s22, v8
	s_and_b32 exec_lo, exec_lo, vcc_lo
	s_cbranch_execz .LBB16_25
; %bb.19:
	s_clause 0x1
	s_load_b64 s[10:11], s[0:1], 0x70
	s_load_b128 s[4:7], s[0:1], 0x60
	v_mul_lo_u32 v0, v16, s23
	s_wait_kmcnt 0x0
	s_cmp_lg_u32 s8, 1
	s_cselect_b32 s2, -1, 0
	s_cmp_lg_u32 s3, 0
	s_mul_u64 s[0:1], s[10:11], s[20:21]
	s_cbranch_scc0 .LBB16_26
; %bb.20:
	s_and_b32 vcc_lo, exec_lo, s2
	s_mov_b32 s8, -1
	s_cbranch_vccz .LBB16_22
; %bb.21:
	v_mul_u64_e32 v[2:3], s[6:7], v[6:7]
	s_mov_b32 s8, 0
	s_delay_alu instid0(VALU_DEP_1) | instskip(NEXT) | instid1(VALU_DEP_1)
	v_lshl_add_u64 v[2:3], v[2:3], 2, s[4:5]
	v_lshl_add_u64 v[2:3], v[8:9], 2, v[2:3]
	s_delay_alu instid0(VALU_DEP_1)
	v_lshl_add_u64 v[2:3], s[0:1], 2, v[2:3]
	global_load_b32 v1, v[2:3], off
	s_wait_loadcnt 0x0
	v_mad_u32 v1, v1, s3, v0
	global_store_b32 v[2:3], v1, off
.LBB16_22:
	s_and_not1_b32 vcc_lo, exec_lo, s8
	s_cbranch_vccnz .LBB16_24
; %bb.23:
	s_wait_xcnt 0x0
	v_mul_u64_e32 v[2:3], s[6:7], v[8:9]
	v_dual_mov_b32 v5, 0 :: v_dual_lshlrev_b32 v4, 2, v6
	s_delay_alu instid0(VALU_DEP_2) | instskip(NEXT) | instid1(VALU_DEP_1)
	v_lshl_add_u64 v[2:3], v[2:3], 2, s[4:5]
	v_add_nc_u64_e32 v[2:3], v[2:3], v[4:5]
	s_delay_alu instid0(VALU_DEP_1)
	v_lshl_add_u64 v[2:3], s[0:1], 2, v[2:3]
	global_load_b32 v1, v[2:3], off
	s_wait_loadcnt 0x0
	v_mad_u32 v1, v1, s3, v0
	global_store_b32 v[2:3], v1, off
.LBB16_24:
	s_cbranch_execz .LBB16_27
.LBB16_25:
	s_endpgm
.LBB16_26:
.LBB16_27:
	s_and_b32 vcc_lo, exec_lo, s2
	s_mov_b32 s2, -1
	s_cbranch_vccz .LBB16_29
; %bb.28:
	s_wait_xcnt 0x0
	v_mul_u64_e32 v[2:3], s[6:7], v[6:7]
	s_mov_b32 s2, 0
	s_delay_alu instid0(VALU_DEP_1) | instskip(NEXT) | instid1(VALU_DEP_1)
	v_lshl_add_u64 v[2:3], v[2:3], 2, s[4:5]
	v_lshl_add_u64 v[2:3], v[8:9], 2, v[2:3]
	s_delay_alu instid0(VALU_DEP_1)
	v_lshl_add_u64 v[2:3], s[0:1], 2, v[2:3]
	global_store_b32 v[2:3], v0, off
.LBB16_29:
	s_and_not1_b32 vcc_lo, exec_lo, s2
	s_cbranch_vccnz .LBB16_25
; %bb.30:
	s_wait_xcnt 0x0
	v_mul_u64_e32 v[2:3], s[6:7], v[8:9]
	v_dual_mov_b32 v5, 0 :: v_dual_lshlrev_b32 v4, 2, v6
	s_delay_alu instid0(VALU_DEP_2) | instskip(NEXT) | instid1(VALU_DEP_1)
	v_lshl_add_u64 v[2:3], v[2:3], 2, s[4:5]
	v_add_nc_u64_e32 v[2:3], v[2:3], v[4:5]
	s_delay_alu instid0(VALU_DEP_1)
	v_lshl_add_u64 v[2:3], s[0:1], 2, v[2:3]
	global_store_b32 v[2:3], v0, off
	s_endpgm
	.section	.rodata,"a",@progbits
	.p2align	6, 0x0
	.amdhsa_kernel _ZN9rocsparse31csrmmnn_row_split_shared_kernelILj256ELj8EiliaaiEEvNS_24const_host_device_scalarIT1_EES3_bbbT3_S4_llPKT2_PKS4_PKT4_PKT5_llPT6_ll16rocsparse_order_21rocsparse_index_base_
		.amdhsa_group_segment_fixed_size 2048
		.amdhsa_private_segment_fixed_size 0
		.amdhsa_kernarg_size 128
		.amdhsa_user_sgpr_count 2
		.amdhsa_user_sgpr_dispatch_ptr 0
		.amdhsa_user_sgpr_queue_ptr 0
		.amdhsa_user_sgpr_kernarg_segment_ptr 1
		.amdhsa_user_sgpr_dispatch_id 0
		.amdhsa_user_sgpr_kernarg_preload_length 0
		.amdhsa_user_sgpr_kernarg_preload_offset 0
		.amdhsa_user_sgpr_private_segment_size 0
		.amdhsa_wavefront_size32 1
		.amdhsa_uses_dynamic_stack 0
		.amdhsa_enable_private_segment 0
		.amdhsa_system_sgpr_workgroup_id_x 1
		.amdhsa_system_sgpr_workgroup_id_y 1
		.amdhsa_system_sgpr_workgroup_id_z 1
		.amdhsa_system_sgpr_workgroup_info 0
		.amdhsa_system_vgpr_workitem_id 0
		.amdhsa_next_free_vgpr 37
		.amdhsa_next_free_sgpr 28
		.amdhsa_named_barrier_count 0
		.amdhsa_reserve_vcc 1
		.amdhsa_float_round_mode_32 0
		.amdhsa_float_round_mode_16_64 0
		.amdhsa_float_denorm_mode_32 3
		.amdhsa_float_denorm_mode_16_64 3
		.amdhsa_fp16_overflow 0
		.amdhsa_memory_ordered 1
		.amdhsa_forward_progress 1
		.amdhsa_inst_pref_size 13
		.amdhsa_round_robin_scheduling 0
		.amdhsa_exception_fp_ieee_invalid_op 0
		.amdhsa_exception_fp_denorm_src 0
		.amdhsa_exception_fp_ieee_div_zero 0
		.amdhsa_exception_fp_ieee_overflow 0
		.amdhsa_exception_fp_ieee_underflow 0
		.amdhsa_exception_fp_ieee_inexact 0
		.amdhsa_exception_int_div_zero 0
	.end_amdhsa_kernel
	.section	.text._ZN9rocsparse31csrmmnn_row_split_shared_kernelILj256ELj8EiliaaiEEvNS_24const_host_device_scalarIT1_EES3_bbbT3_S4_llPKT2_PKS4_PKT4_PKT5_llPT6_ll16rocsparse_order_21rocsparse_index_base_,"axG",@progbits,_ZN9rocsparse31csrmmnn_row_split_shared_kernelILj256ELj8EiliaaiEEvNS_24const_host_device_scalarIT1_EES3_bbbT3_S4_llPKT2_PKS4_PKT4_PKT5_llPT6_ll16rocsparse_order_21rocsparse_index_base_,comdat
.Lfunc_end16:
	.size	_ZN9rocsparse31csrmmnn_row_split_shared_kernelILj256ELj8EiliaaiEEvNS_24const_host_device_scalarIT1_EES3_bbbT3_S4_llPKT2_PKS4_PKT4_PKT5_llPT6_ll16rocsparse_order_21rocsparse_index_base_, .Lfunc_end16-_ZN9rocsparse31csrmmnn_row_split_shared_kernelILj256ELj8EiliaaiEEvNS_24const_host_device_scalarIT1_EES3_bbbT3_S4_llPKT2_PKS4_PKT4_PKT5_llPT6_ll16rocsparse_order_21rocsparse_index_base_
                                        ; -- End function
	.set _ZN9rocsparse31csrmmnn_row_split_shared_kernelILj256ELj8EiliaaiEEvNS_24const_host_device_scalarIT1_EES3_bbbT3_S4_llPKT2_PKS4_PKT4_PKT5_llPT6_ll16rocsparse_order_21rocsparse_index_base_.num_vgpr, 37
	.set _ZN9rocsparse31csrmmnn_row_split_shared_kernelILj256ELj8EiliaaiEEvNS_24const_host_device_scalarIT1_EES3_bbbT3_S4_llPKT2_PKS4_PKT4_PKT5_llPT6_ll16rocsparse_order_21rocsparse_index_base_.num_agpr, 0
	.set _ZN9rocsparse31csrmmnn_row_split_shared_kernelILj256ELj8EiliaaiEEvNS_24const_host_device_scalarIT1_EES3_bbbT3_S4_llPKT2_PKS4_PKT4_PKT5_llPT6_ll16rocsparse_order_21rocsparse_index_base_.numbered_sgpr, 28
	.set _ZN9rocsparse31csrmmnn_row_split_shared_kernelILj256ELj8EiliaaiEEvNS_24const_host_device_scalarIT1_EES3_bbbT3_S4_llPKT2_PKS4_PKT4_PKT5_llPT6_ll16rocsparse_order_21rocsparse_index_base_.num_named_barrier, 0
	.set _ZN9rocsparse31csrmmnn_row_split_shared_kernelILj256ELj8EiliaaiEEvNS_24const_host_device_scalarIT1_EES3_bbbT3_S4_llPKT2_PKS4_PKT4_PKT5_llPT6_ll16rocsparse_order_21rocsparse_index_base_.private_seg_size, 0
	.set _ZN9rocsparse31csrmmnn_row_split_shared_kernelILj256ELj8EiliaaiEEvNS_24const_host_device_scalarIT1_EES3_bbbT3_S4_llPKT2_PKS4_PKT4_PKT5_llPT6_ll16rocsparse_order_21rocsparse_index_base_.uses_vcc, 1
	.set _ZN9rocsparse31csrmmnn_row_split_shared_kernelILj256ELj8EiliaaiEEvNS_24const_host_device_scalarIT1_EES3_bbbT3_S4_llPKT2_PKS4_PKT4_PKT5_llPT6_ll16rocsparse_order_21rocsparse_index_base_.uses_flat_scratch, 0
	.set _ZN9rocsparse31csrmmnn_row_split_shared_kernelILj256ELj8EiliaaiEEvNS_24const_host_device_scalarIT1_EES3_bbbT3_S4_llPKT2_PKS4_PKT4_PKT5_llPT6_ll16rocsparse_order_21rocsparse_index_base_.has_dyn_sized_stack, 0
	.set _ZN9rocsparse31csrmmnn_row_split_shared_kernelILj256ELj8EiliaaiEEvNS_24const_host_device_scalarIT1_EES3_bbbT3_S4_llPKT2_PKS4_PKT4_PKT5_llPT6_ll16rocsparse_order_21rocsparse_index_base_.has_recursion, 0
	.set _ZN9rocsparse31csrmmnn_row_split_shared_kernelILj256ELj8EiliaaiEEvNS_24const_host_device_scalarIT1_EES3_bbbT3_S4_llPKT2_PKS4_PKT4_PKT5_llPT6_ll16rocsparse_order_21rocsparse_index_base_.has_indirect_call, 0
	.section	.AMDGPU.csdata,"",@progbits
; Kernel info:
; codeLenInByte = 1548
; TotalNumSgprs: 30
; NumVgprs: 37
; ScratchSize: 0
; MemoryBound: 0
; FloatMode: 240
; IeeeMode: 1
; LDSByteSize: 2048 bytes/workgroup (compile time only)
; SGPRBlocks: 0
; VGPRBlocks: 2
; NumSGPRsForWavesPerEU: 30
; NumVGPRsForWavesPerEU: 37
; NamedBarCnt: 0
; Occupancy: 16
; WaveLimiterHint : 1
; COMPUTE_PGM_RSRC2:SCRATCH_EN: 0
; COMPUTE_PGM_RSRC2:USER_SGPR: 2
; COMPUTE_PGM_RSRC2:TRAP_HANDLER: 0
; COMPUTE_PGM_RSRC2:TGID_X_EN: 1
; COMPUTE_PGM_RSRC2:TGID_Y_EN: 1
; COMPUTE_PGM_RSRC2:TGID_Z_EN: 1
; COMPUTE_PGM_RSRC2:TIDIG_COMP_CNT: 0
	.section	.text._ZN9rocsparse31csrmmnn_row_split_shared_kernelILj256ELj8EillaaiEEvNS_24const_host_device_scalarIT1_EES3_bbbT3_S4_llPKT2_PKS4_PKT4_PKT5_llPT6_ll16rocsparse_order_21rocsparse_index_base_,"axG",@progbits,_ZN9rocsparse31csrmmnn_row_split_shared_kernelILj256ELj8EillaaiEEvNS_24const_host_device_scalarIT1_EES3_bbbT3_S4_llPKT2_PKS4_PKT4_PKT5_llPT6_ll16rocsparse_order_21rocsparse_index_base_,comdat
	.protected	_ZN9rocsparse31csrmmnn_row_split_shared_kernelILj256ELj8EillaaiEEvNS_24const_host_device_scalarIT1_EES3_bbbT3_S4_llPKT2_PKS4_PKT4_PKT5_llPT6_ll16rocsparse_order_21rocsparse_index_base_ ; -- Begin function _ZN9rocsparse31csrmmnn_row_split_shared_kernelILj256ELj8EillaaiEEvNS_24const_host_device_scalarIT1_EES3_bbbT3_S4_llPKT2_PKS4_PKT4_PKT5_llPT6_ll16rocsparse_order_21rocsparse_index_base_
	.globl	_ZN9rocsparse31csrmmnn_row_split_shared_kernelILj256ELj8EillaaiEEvNS_24const_host_device_scalarIT1_EES3_bbbT3_S4_llPKT2_PKS4_PKT4_PKT5_llPT6_ll16rocsparse_order_21rocsparse_index_base_
	.p2align	8
	.type	_ZN9rocsparse31csrmmnn_row_split_shared_kernelILj256ELj8EillaaiEEvNS_24const_host_device_scalarIT1_EES3_bbbT3_S4_llPKT2_PKS4_PKT4_PKT5_llPT6_ll16rocsparse_order_21rocsparse_index_base_,@function
_ZN9rocsparse31csrmmnn_row_split_shared_kernelILj256ELj8EillaaiEEvNS_24const_host_device_scalarIT1_EES3_bbbT3_S4_llPKT2_PKS4_PKT4_PKT5_llPT6_ll16rocsparse_order_21rocsparse_index_base_: ; @_ZN9rocsparse31csrmmnn_row_split_shared_kernelILj256ELj8EillaaiEEvNS_24const_host_device_scalarIT1_EES3_bbbT3_S4_llPKT2_PKS4_PKT4_PKT5_llPT6_ll16rocsparse_order_21rocsparse_index_base_
; %bb.0:
	s_clause 0x1
	s_load_b32 s2, s[0:1], 0x10
	s_load_b128 s[4:7], s[0:1], 0x0
	s_mov_b32 s3, -1
                                        ; implicit-def: $sgpr34
	s_wait_kmcnt 0x0
	s_bitcmp1_b32 s2, 0
	s_cselect_b32 s2, -1, 0
	s_delay_alu instid0(SALU_CYCLE_1) | instskip(NEXT) | instid1(SALU_CYCLE_1)
	s_xor_b32 s2, s2, -1
	s_and_b32 vcc_lo, exec_lo, s2
	s_cbranch_vccnz .LBB17_4
; %bb.1:
	s_and_not1_b32 vcc_lo, exec_lo, s3
	s_cbranch_vccz .LBB17_5
.LBB17_2:
	s_and_b32 vcc_lo, exec_lo, s2
	s_cbranch_vccz .LBB17_6
.LBB17_3:
	s_load_b32 s33, s[6:7], 0x0
	s_cbranch_execz .LBB17_7
	s_branch .LBB17_8
.LBB17_4:
	s_load_b32 s34, s[4:5], 0x0
	s_cbranch_execnz .LBB17_2
.LBB17_5:
	s_wait_kmcnt 0x0
	s_mov_b32 s34, s4
	s_and_b32 vcc_lo, exec_lo, s2
	s_cbranch_vccnz .LBB17_3
.LBB17_6:
                                        ; implicit-def: $sgpr33
.LBB17_7:
	s_wait_kmcnt 0x0
	s_mov_b32 s33, s6
.LBB17_8:
	s_wait_kmcnt 0x0
	s_cmp_eq_u32 s34, 0
	s_cselect_b32 s2, -1, 0
	s_cmp_eq_u32 s33, 1
	s_cselect_b32 s3, -1, 0
	s_delay_alu instid0(SALU_CYCLE_1) | instskip(NEXT) | instid1(SALU_CYCLE_1)
	s_and_b32 s2, s2, s3
	s_and_b32 vcc_lo, exec_lo, s2
	s_cbranch_vccnz .LBB17_25
; %bb.9:
	s_bfe_u32 s2, ttmp6, 0x4000c
	s_load_b512 s[4:19], s[0:1], 0x18
	s_add_co_i32 s2, s2, 1
	s_and_b32 s3, ttmp6, 15
	s_mul_i32 s20, ttmp9, s2
	s_getreg_b32 s2, hwreg(HW_REG_IB_STS2, 6, 4)
	s_add_co_i32 s3, s3, s20
	s_cmp_eq_u32 s2, 0
	v_mov_b32_e32 v7, 0
	s_cselect_b32 s3, ttmp9, s3
	s_delay_alu instid0(SALU_CYCLE_1) | instskip(SKIP_1) | instid1(VALU_DEP_1)
	v_lshl_or_b32 v1, s3, 8, v0
	s_mov_b32 s3, exec_lo
	v_lshrrev_b32_e32 v6, 3, v1
	s_wait_kmcnt 0x0
	s_delay_alu instid0(VALU_DEP_1)
	v_cmpx_gt_i64_e64 s[4:5], v[6:7]
	s_cbranch_execz .LBB17_25
; %bb.10:
	s_bfe_u32 s3, ttmp6, 0x40014
	s_bfe_u32 s5, ttmp6, 0x40010
	s_lshr_b32 s4, ttmp7, 16
	s_add_co_i32 s3, s3, 1
	s_and_b32 s20, ttmp7, 0xffff
	s_add_co_i32 s5, s5, 1
	s_mul_i32 s3, s4, s3
	s_bfe_u32 s21, ttmp6, 0x40008
	s_mul_i32 s5, s20, s5
	s_bfe_u32 s22, ttmp6, 0x40004
	s_add_co_i32 s21, s21, s3
	s_add_co_i32 s22, s22, s5
	s_cmp_eq_u32 s2, 0
	s_mov_b32 s3, 0
	s_cselect_b32 s2, s4, s21
	v_dual_lshlrev_b32 v1, 3, v6 :: v_dual_bitop2_b32 v10, 7, v0 bitop3:0x40
	s_mul_u64 s[4:5], s[8:9], s[2:3]
	s_cselect_b32 s35, s20, s22
	s_lshl_b64 s[4:5], s[4:5], 3
	v_dual_mov_b32 v9, v7 :: v_dual_mov_b32 v18, v7
	s_add_nc_u64 s[4:5], s[12:13], s[4:5]
	v_lshl_or_b32 v8, s35, 3, v10
	global_load_b128 v[2:5], v1, s[4:5]
	s_clause 0x1
	s_load_b256 s[20:27], s[0:1], 0x58
	s_load_b128 s[28:31], s[0:1], 0x78
	s_wait_xcnt 0x0
	s_mov_b32 s1, exec_lo
	s_wait_loadcnt 0x0
	v_cmpx_lt_i64_e64 v[2:3], v[4:5]
	s_cbranch_execz .LBB17_18
; %bb.11:
	s_wait_kmcnt 0x0
	v_mad_nc_u64_u32 v[12:13], s20, v8, s[18:19]
	v_mad_nc_u64_u32 v[14:15], s10, s2, v[2:3]
	v_dual_mov_b32 v11, 0 :: v_dual_lshrrev_b32 v16, 3, v0
	s_mov_b32 s4, s31
	s_mov_b32 s5, s3
	s_mul_u64 s[8:9], s[10:11], s[2:3]
	v_sub_nc_u64_e64 v[4:5], v[4:5], s[4:5]
	v_dual_mov_b32 v18, v11 :: v_dual_lshlrev_b32 v19, 6, v16
	v_lshl_or_b32 v20, v16, 5, 0x800
	v_mad_u32 v13, s21, v8, v13
	v_mad_u32 v15, s11, s2, v15
	s_add_nc_u64 s[8:9], s[16:17], s[8:9]
	v_sub_nc_u64_e64 v[2:3], v[2:3], s[4:5]
	v_lshl_or_b32 v21, v10, 3, v19
	v_lshl_or_b32 v22, v10, 2, v20
	v_cmp_gt_i64_e32 vcc_lo, s[6:7], v[8:9]
	v_mad_nc_u64_u32 v[0:1], s22, s2, v[12:13]
	v_add_nc_u64_e32 v[12:13], v[14:15], v[10:11]
	s_delay_alu instid0(VALU_DEP_1) | instskip(SKIP_2) | instid1(VALU_DEP_4)
	v_sub_nc_u64_e64 v[14:15], v[12:13], s[4:5]
	v_add_nc_u64_e32 v[12:13], s[8:9], v[10:11]
	s_mov_b32 s8, s3
	v_mad_u32 v1, s23, s2, v1
	s_delay_alu instid0(VALU_DEP_3)
	v_lshl_add_u64 v[14:15], v[14:15], 3, s[14:15]
	s_branch .LBB17_13
.LBB17_12:                              ;   in Loop: Header=BB17_13 Depth=1
	s_or_b32 exec_lo, exec_lo, s0
	v_add_nc_u64_e32 v[2:3], 8, v[2:3]
	v_add_nc_u64_e32 v[14:15], 64, v[14:15]
	s_delay_alu instid0(VALU_DEP_2) | instskip(SKIP_1) | instid1(SALU_CYCLE_1)
	v_cmp_ge_i64_e64 s0, v[2:3], v[4:5]
	s_or_b32 s8, s0, s8
	s_and_not1_b32 exec_lo, exec_lo, s8
	s_cbranch_execz .LBB17_17
.LBB17_13:                              ; =>This Inner Loop Header: Depth=1
	v_add_nc_u64_e32 v[16:17], v[10:11], v[2:3]
	v_mov_b32_e32 v23, 0
	s_barrier_signal -1
	s_barrier_wait -1
	s_delay_alu instid0(VALU_DEP_2)
	v_cmp_lt_i64_e64 s0, v[16:17], v[4:5]
	v_mov_b64_e32 v[16:17], 0
	s_and_saveexec_b32 s9, s0
	s_cbranch_execz .LBB17_15
; %bb.14:                               ;   in Loop: Header=BB17_13 Depth=1
	global_load_b64 v[16:17], v[14:15], off
	v_add_nc_u64_e32 v[24:25], v[12:13], v[2:3]
	global_load_i8 v23, v[24:25], off
	s_wait_loadcnt 0x1
	v_sub_nc_u64_e64 v[16:17], v[16:17], s[4:5]
.LBB17_15:                              ;   in Loop: Header=BB17_13 Depth=1
	s_wait_xcnt 0x0
	s_or_b32 exec_lo, exec_lo, s9
	ds_store_b64 v21, v[16:17]
	s_wait_loadcnt 0x0
	ds_store_b32 v22, v23
	s_wait_dscnt 0x0
	s_barrier_signal -1
	s_barrier_wait -1
	s_and_saveexec_b32 s0, vcc_lo
	s_cbranch_execz .LBB17_12
; %bb.16:                               ;   in Loop: Header=BB17_13 Depth=1
	ds_load_b128 v[24:27], v19
	ds_load_b128 v[28:31], v19 offset:16
	s_wait_dscnt 0x1
	v_add_nc_u64_e32 v[16:17], v[0:1], v[24:25]
	global_load_i8 v23, v[16:17], off
	s_wait_xcnt 0x0
	v_add_nc_u64_e32 v[16:17], v[0:1], v[26:27]
	ds_load_b128 v[24:27], v19 offset:32
	global_load_i8 v32, v[16:17], off
	s_wait_dscnt 0x1
	s_wait_xcnt 0x0
	v_add_nc_u64_e32 v[16:17], v[0:1], v[28:29]
	global_load_i8 v33, v[16:17], off
	s_wait_xcnt 0x0
	v_add_nc_u64_e32 v[16:17], v[0:1], v[30:31]
	ds_load_b128 v[28:31], v19 offset:48
	global_load_i8 v34, v[16:17], off
	s_wait_dscnt 0x1
	s_wait_xcnt 0x0
	v_add_nc_u64_e32 v[16:17], v[0:1], v[24:25]
	global_load_i8 v35, v[16:17], off
	s_wait_xcnt 0x0
	v_add_nc_u64_e32 v[16:17], v[0:1], v[26:27]
	global_load_i8 v36, v[16:17], off
	s_wait_dscnt 0x0
	s_wait_xcnt 0x0
	v_add_nc_u64_e32 v[16:17], v[0:1], v[28:29]
	global_load_i8 v37, v[16:17], off
	s_wait_xcnt 0x0
	v_add_nc_u64_e32 v[16:17], v[0:1], v[30:31]
	global_load_i8 v16, v[16:17], off
	ds_load_b128 v[24:27], v20
	ds_load_b128 v[28:31], v20 offset:16
	s_wait_loadcnt_dscnt 0x701
	s_wait_xcnt 0x0
	v_mad_u32 v17, v24, v23, v18
	s_wait_loadcnt 0x6
	s_delay_alu instid0(VALU_DEP_1) | instskip(SKIP_1) | instid1(VALU_DEP_1)
	v_mad_u32 v17, v25, v32, v17
	s_wait_loadcnt 0x5
	v_mad_u32 v17, v26, v33, v17
	s_wait_loadcnt 0x4
	s_delay_alu instid0(VALU_DEP_1) | instskip(SKIP_1) | instid1(VALU_DEP_1)
	v_mad_u32 v17, v27, v34, v17
	s_wait_loadcnt_dscnt 0x300
	v_mad_u32 v17, v28, v35, v17
	s_wait_loadcnt 0x2
	s_delay_alu instid0(VALU_DEP_1) | instskip(SKIP_1) | instid1(VALU_DEP_1)
	v_mad_u32 v17, v29, v36, v17
	s_wait_loadcnt 0x1
	v_mad_u32 v17, v30, v37, v17
	s_wait_loadcnt 0x0
	s_delay_alu instid0(VALU_DEP_1)
	v_mad_u32 v18, v31, v16, v17
	s_branch .LBB17_12
.LBB17_17:
	s_or_b32 exec_lo, exec_lo, s8
.LBB17_18:
	s_delay_alu instid0(SALU_CYCLE_1)
	s_or_b32 exec_lo, exec_lo, s1
	v_cmp_gt_i64_e32 vcc_lo, s[6:7], v[8:9]
	s_and_b32 exec_lo, exec_lo, vcc_lo
	s_cbranch_execz .LBB17_25
; %bb.19:
	v_mul_lo_u32 v0, v18, s34
	s_wait_kmcnt 0x0
	s_cmp_lg_u32 s30, 1
	s_mul_u64 s[0:1], s[28:29], s[2:3]
	s_cselect_b32 s4, -1, 0
	s_cmp_lg_u32 s33, 0
	s_cbranch_scc0 .LBB17_26
; %bb.20:
	s_and_b32 vcc_lo, exec_lo, s4
	s_mov_b32 s2, -1
	s_cbranch_vccz .LBB17_22
; %bb.21:
	v_mul_u64_e32 v[2:3], s[26:27], v[6:7]
	s_mov_b32 s2, 0
	s_delay_alu instid0(VALU_DEP_1) | instskip(NEXT) | instid1(VALU_DEP_1)
	v_lshl_add_u64 v[2:3], v[2:3], 2, s[24:25]
	v_lshl_add_u64 v[2:3], v[8:9], 2, v[2:3]
	s_delay_alu instid0(VALU_DEP_1)
	v_lshl_add_u64 v[2:3], s[0:1], 2, v[2:3]
	global_load_b32 v1, v[2:3], off
	s_wait_loadcnt 0x0
	v_mad_u32 v1, v1, s33, v0
	global_store_b32 v[2:3], v1, off
.LBB17_22:
	s_and_not1_b32 vcc_lo, exec_lo, s2
	s_cbranch_vccnz .LBB17_24
; %bb.23:
	s_wait_xcnt 0x0
	v_mul_u64_e32 v[2:3], s[26:27], v[8:9]
	v_dual_mov_b32 v5, 0 :: v_dual_lshlrev_b32 v4, 2, v6
	s_delay_alu instid0(VALU_DEP_2) | instskip(NEXT) | instid1(VALU_DEP_1)
	v_lshl_add_u64 v[2:3], v[2:3], 2, s[24:25]
	v_add_nc_u64_e32 v[2:3], v[2:3], v[4:5]
	s_delay_alu instid0(VALU_DEP_1)
	v_lshl_add_u64 v[2:3], s[0:1], 2, v[2:3]
	global_load_b32 v1, v[2:3], off
	s_wait_loadcnt 0x0
	v_mad_u32 v1, v1, s33, v0
	global_store_b32 v[2:3], v1, off
.LBB17_24:
	s_cbranch_execz .LBB17_27
.LBB17_25:
	s_endpgm
.LBB17_26:
.LBB17_27:
	s_and_b32 vcc_lo, exec_lo, s4
	s_mov_b32 s2, -1
	s_cbranch_vccz .LBB17_29
; %bb.28:
	s_wait_xcnt 0x0
	v_mul_u64_e32 v[2:3], s[26:27], v[6:7]
	s_mov_b32 s2, 0
	s_delay_alu instid0(VALU_DEP_1) | instskip(NEXT) | instid1(VALU_DEP_1)
	v_lshl_add_u64 v[2:3], v[2:3], 2, s[24:25]
	v_lshl_add_u64 v[2:3], v[8:9], 2, v[2:3]
	s_delay_alu instid0(VALU_DEP_1)
	v_lshl_add_u64 v[2:3], s[0:1], 2, v[2:3]
	global_store_b32 v[2:3], v0, off
.LBB17_29:
	s_and_not1_b32 vcc_lo, exec_lo, s2
	s_cbranch_vccnz .LBB17_25
; %bb.30:
	s_wait_xcnt 0x0
	v_mul_u64_e32 v[2:3], s[26:27], v[8:9]
	v_dual_mov_b32 v5, 0 :: v_dual_lshlrev_b32 v4, 2, v6
	s_delay_alu instid0(VALU_DEP_2) | instskip(NEXT) | instid1(VALU_DEP_1)
	v_lshl_add_u64 v[2:3], v[2:3], 2, s[24:25]
	v_add_nc_u64_e32 v[2:3], v[2:3], v[4:5]
	s_delay_alu instid0(VALU_DEP_1)
	v_lshl_add_u64 v[2:3], s[0:1], 2, v[2:3]
	global_store_b32 v[2:3], v0, off
	s_endpgm
	.section	.rodata,"a",@progbits
	.p2align	6, 0x0
	.amdhsa_kernel _ZN9rocsparse31csrmmnn_row_split_shared_kernelILj256ELj8EillaaiEEvNS_24const_host_device_scalarIT1_EES3_bbbT3_S4_llPKT2_PKS4_PKT4_PKT5_llPT6_ll16rocsparse_order_21rocsparse_index_base_
		.amdhsa_group_segment_fixed_size 3072
		.amdhsa_private_segment_fixed_size 0
		.amdhsa_kernarg_size 136
		.amdhsa_user_sgpr_count 2
		.amdhsa_user_sgpr_dispatch_ptr 0
		.amdhsa_user_sgpr_queue_ptr 0
		.amdhsa_user_sgpr_kernarg_segment_ptr 1
		.amdhsa_user_sgpr_dispatch_id 0
		.amdhsa_user_sgpr_kernarg_preload_length 0
		.amdhsa_user_sgpr_kernarg_preload_offset 0
		.amdhsa_user_sgpr_private_segment_size 0
		.amdhsa_wavefront_size32 1
		.amdhsa_uses_dynamic_stack 0
		.amdhsa_enable_private_segment 0
		.amdhsa_system_sgpr_workgroup_id_x 1
		.amdhsa_system_sgpr_workgroup_id_y 1
		.amdhsa_system_sgpr_workgroup_id_z 1
		.amdhsa_system_sgpr_workgroup_info 0
		.amdhsa_system_vgpr_workitem_id 0
		.amdhsa_next_free_vgpr 38
		.amdhsa_next_free_sgpr 36
		.amdhsa_named_barrier_count 0
		.amdhsa_reserve_vcc 1
		.amdhsa_float_round_mode_32 0
		.amdhsa_float_round_mode_16_64 0
		.amdhsa_float_denorm_mode_32 3
		.amdhsa_float_denorm_mode_16_64 3
		.amdhsa_fp16_overflow 0
		.amdhsa_memory_ordered 1
		.amdhsa_forward_progress 1
		.amdhsa_inst_pref_size 12
		.amdhsa_round_robin_scheduling 0
		.amdhsa_exception_fp_ieee_invalid_op 0
		.amdhsa_exception_fp_denorm_src 0
		.amdhsa_exception_fp_ieee_div_zero 0
		.amdhsa_exception_fp_ieee_overflow 0
		.amdhsa_exception_fp_ieee_underflow 0
		.amdhsa_exception_fp_ieee_inexact 0
		.amdhsa_exception_int_div_zero 0
	.end_amdhsa_kernel
	.section	.text._ZN9rocsparse31csrmmnn_row_split_shared_kernelILj256ELj8EillaaiEEvNS_24const_host_device_scalarIT1_EES3_bbbT3_S4_llPKT2_PKS4_PKT4_PKT5_llPT6_ll16rocsparse_order_21rocsparse_index_base_,"axG",@progbits,_ZN9rocsparse31csrmmnn_row_split_shared_kernelILj256ELj8EillaaiEEvNS_24const_host_device_scalarIT1_EES3_bbbT3_S4_llPKT2_PKS4_PKT4_PKT5_llPT6_ll16rocsparse_order_21rocsparse_index_base_,comdat
.Lfunc_end17:
	.size	_ZN9rocsparse31csrmmnn_row_split_shared_kernelILj256ELj8EillaaiEEvNS_24const_host_device_scalarIT1_EES3_bbbT3_S4_llPKT2_PKS4_PKT4_PKT5_llPT6_ll16rocsparse_order_21rocsparse_index_base_, .Lfunc_end17-_ZN9rocsparse31csrmmnn_row_split_shared_kernelILj256ELj8EillaaiEEvNS_24const_host_device_scalarIT1_EES3_bbbT3_S4_llPKT2_PKS4_PKT4_PKT5_llPT6_ll16rocsparse_order_21rocsparse_index_base_
                                        ; -- End function
	.set _ZN9rocsparse31csrmmnn_row_split_shared_kernelILj256ELj8EillaaiEEvNS_24const_host_device_scalarIT1_EES3_bbbT3_S4_llPKT2_PKS4_PKT4_PKT5_llPT6_ll16rocsparse_order_21rocsparse_index_base_.num_vgpr, 38
	.set _ZN9rocsparse31csrmmnn_row_split_shared_kernelILj256ELj8EillaaiEEvNS_24const_host_device_scalarIT1_EES3_bbbT3_S4_llPKT2_PKS4_PKT4_PKT5_llPT6_ll16rocsparse_order_21rocsparse_index_base_.num_agpr, 0
	.set _ZN9rocsparse31csrmmnn_row_split_shared_kernelILj256ELj8EillaaiEEvNS_24const_host_device_scalarIT1_EES3_bbbT3_S4_llPKT2_PKS4_PKT4_PKT5_llPT6_ll16rocsparse_order_21rocsparse_index_base_.numbered_sgpr, 36
	.set _ZN9rocsparse31csrmmnn_row_split_shared_kernelILj256ELj8EillaaiEEvNS_24const_host_device_scalarIT1_EES3_bbbT3_S4_llPKT2_PKS4_PKT4_PKT5_llPT6_ll16rocsparse_order_21rocsparse_index_base_.num_named_barrier, 0
	.set _ZN9rocsparse31csrmmnn_row_split_shared_kernelILj256ELj8EillaaiEEvNS_24const_host_device_scalarIT1_EES3_bbbT3_S4_llPKT2_PKS4_PKT4_PKT5_llPT6_ll16rocsparse_order_21rocsparse_index_base_.private_seg_size, 0
	.set _ZN9rocsparse31csrmmnn_row_split_shared_kernelILj256ELj8EillaaiEEvNS_24const_host_device_scalarIT1_EES3_bbbT3_S4_llPKT2_PKS4_PKT4_PKT5_llPT6_ll16rocsparse_order_21rocsparse_index_base_.uses_vcc, 1
	.set _ZN9rocsparse31csrmmnn_row_split_shared_kernelILj256ELj8EillaaiEEvNS_24const_host_device_scalarIT1_EES3_bbbT3_S4_llPKT2_PKS4_PKT4_PKT5_llPT6_ll16rocsparse_order_21rocsparse_index_base_.uses_flat_scratch, 0
	.set _ZN9rocsparse31csrmmnn_row_split_shared_kernelILj256ELj8EillaaiEEvNS_24const_host_device_scalarIT1_EES3_bbbT3_S4_llPKT2_PKS4_PKT4_PKT5_llPT6_ll16rocsparse_order_21rocsparse_index_base_.has_dyn_sized_stack, 0
	.set _ZN9rocsparse31csrmmnn_row_split_shared_kernelILj256ELj8EillaaiEEvNS_24const_host_device_scalarIT1_EES3_bbbT3_S4_llPKT2_PKS4_PKT4_PKT5_llPT6_ll16rocsparse_order_21rocsparse_index_base_.has_recursion, 0
	.set _ZN9rocsparse31csrmmnn_row_split_shared_kernelILj256ELj8EillaaiEEvNS_24const_host_device_scalarIT1_EES3_bbbT3_S4_llPKT2_PKS4_PKT4_PKT5_llPT6_ll16rocsparse_order_21rocsparse_index_base_.has_indirect_call, 0
	.section	.AMDGPU.csdata,"",@progbits
; Kernel info:
; codeLenInByte = 1476
; TotalNumSgprs: 38
; NumVgprs: 38
; ScratchSize: 0
; MemoryBound: 0
; FloatMode: 240
; IeeeMode: 1
; LDSByteSize: 3072 bytes/workgroup (compile time only)
; SGPRBlocks: 0
; VGPRBlocks: 2
; NumSGPRsForWavesPerEU: 38
; NumVGPRsForWavesPerEU: 38
; NamedBarCnt: 0
; Occupancy: 16
; WaveLimiterHint : 0
; COMPUTE_PGM_RSRC2:SCRATCH_EN: 0
; COMPUTE_PGM_RSRC2:USER_SGPR: 2
; COMPUTE_PGM_RSRC2:TRAP_HANDLER: 0
; COMPUTE_PGM_RSRC2:TGID_X_EN: 1
; COMPUTE_PGM_RSRC2:TGID_Y_EN: 1
; COMPUTE_PGM_RSRC2:TGID_Z_EN: 1
; COMPUTE_PGM_RSRC2:TIDIG_COMP_CNT: 0
	.section	.text._ZN9rocsparse31csrmmnn_row_split_shared_kernelILj256ELj8EfiiaafEEvNS_24const_host_device_scalarIT1_EES3_bbbT3_S4_llPKT2_PKS4_PKT4_PKT5_llPT6_ll16rocsparse_order_21rocsparse_index_base_,"axG",@progbits,_ZN9rocsparse31csrmmnn_row_split_shared_kernelILj256ELj8EfiiaafEEvNS_24const_host_device_scalarIT1_EES3_bbbT3_S4_llPKT2_PKS4_PKT4_PKT5_llPT6_ll16rocsparse_order_21rocsparse_index_base_,comdat
	.protected	_ZN9rocsparse31csrmmnn_row_split_shared_kernelILj256ELj8EfiiaafEEvNS_24const_host_device_scalarIT1_EES3_bbbT3_S4_llPKT2_PKS4_PKT4_PKT5_llPT6_ll16rocsparse_order_21rocsparse_index_base_ ; -- Begin function _ZN9rocsparse31csrmmnn_row_split_shared_kernelILj256ELj8EfiiaafEEvNS_24const_host_device_scalarIT1_EES3_bbbT3_S4_llPKT2_PKS4_PKT4_PKT5_llPT6_ll16rocsparse_order_21rocsparse_index_base_
	.globl	_ZN9rocsparse31csrmmnn_row_split_shared_kernelILj256ELj8EfiiaafEEvNS_24const_host_device_scalarIT1_EES3_bbbT3_S4_llPKT2_PKS4_PKT4_PKT5_llPT6_ll16rocsparse_order_21rocsparse_index_base_
	.p2align	8
	.type	_ZN9rocsparse31csrmmnn_row_split_shared_kernelILj256ELj8EfiiaafEEvNS_24const_host_device_scalarIT1_EES3_bbbT3_S4_llPKT2_PKS4_PKT4_PKT5_llPT6_ll16rocsparse_order_21rocsparse_index_base_,@function
_ZN9rocsparse31csrmmnn_row_split_shared_kernelILj256ELj8EfiiaafEEvNS_24const_host_device_scalarIT1_EES3_bbbT3_S4_llPKT2_PKS4_PKT4_PKT5_llPT6_ll16rocsparse_order_21rocsparse_index_base_: ; @_ZN9rocsparse31csrmmnn_row_split_shared_kernelILj256ELj8EfiiaafEEvNS_24const_host_device_scalarIT1_EES3_bbbT3_S4_llPKT2_PKS4_PKT4_PKT5_llPT6_ll16rocsparse_order_21rocsparse_index_base_
; %bb.0:
	s_clause 0x1
	s_load_b96 s[24:26], s[0:1], 0x10
	s_load_b128 s[20:23], s[0:1], 0x0
	s_wait_kmcnt 0x0
	s_bitcmp1_b32 s24, 0
	s_cselect_b32 s2, -1, 0
	s_delay_alu instid0(SALU_CYCLE_1)
	s_and_b32 vcc_lo, exec_lo, s2
	s_xor_b32 s2, s2, -1
	s_cbranch_vccnz .LBB18_2
; %bb.1:
	s_load_b32 s20, s[20:21], 0x0
.LBB18_2:
	s_and_not1_b32 vcc_lo, exec_lo, s2
	s_cbranch_vccnz .LBB18_4
; %bb.3:
	s_load_b32 s22, s[22:23], 0x0
.LBB18_4:
	s_wait_kmcnt 0x0
	s_cmp_eq_f32 s20, 0
	s_cselect_b32 s2, -1, 0
	s_cmp_eq_f32 s22, 1.0
	s_cselect_b32 s3, -1, 0
	s_delay_alu instid0(SALU_CYCLE_1) | instskip(NEXT) | instid1(SALU_CYCLE_1)
	s_and_b32 s2, s2, s3
	s_and_b32 vcc_lo, exec_lo, s2
	s_cbranch_vccnz .LBB18_21
; %bb.5:
	s_bfe_u32 s2, ttmp6, 0x4000c
	s_and_b32 s3, ttmp6, 15
	s_add_co_i32 s2, s2, 1
	s_delay_alu instid0(SALU_CYCLE_1) | instskip(SKIP_4) | instid1(SALU_CYCLE_1)
	s_mul_i32 s4, ttmp9, s2
	s_getreg_b32 s2, hwreg(HW_REG_IB_STS2, 6, 4)
	s_add_co_i32 s3, s3, s4
	s_cmp_eq_u32 s2, 0
	s_cselect_b32 s3, ttmp9, s3
	v_lshl_or_b32 v1, s3, 8, v0
	s_mov_b32 s3, exec_lo
	s_delay_alu instid0(VALU_DEP_1) | instskip(NEXT) | instid1(VALU_DEP_1)
	v_lshrrev_b32_e32 v2, 3, v1
	v_cmpx_gt_i32_e64 s25, v2
	s_cbranch_execz .LBB18_21
; %bb.6:
	s_load_b512 s[4:19], s[0:1], 0x20
	s_bfe_u32 s21, ttmp6, 0x40014
	s_bfe_u32 s24, ttmp6, 0x40010
	s_lshr_b32 s3, ttmp7, 16
	s_and_b32 s27, ttmp7, 0xffff
	s_add_co_i32 s21, s21, 1
	s_add_co_i32 s24, s24, 1
	s_bfe_u32 s23, ttmp6, 0x40008
	s_bfe_u32 s25, ttmp6, 0x40004
	s_mul_i32 s21, s3, s21
	s_mul_i32 s24, s27, s24
	s_add_co_i32 s23, s23, s21
	s_add_co_i32 s21, s25, s24
	s_cmp_eq_u32 s2, 0
	s_mov_b32 s25, 0
	s_cselect_b32 s24, s3, s23
	v_dual_lshlrev_b32 v1, 2, v2 :: v_dual_bitop2_b32 v8, 7, v0 bitop3:0x40
	s_wait_kmcnt 0x0
	s_mul_u64 s[2:3], s[4:5], s[24:25]
	s_cselect_b32 s4, s27, s21
	s_lshl_b64 s[2:3], s[2:3], 2
	v_lshl_or_b32 v4, s4, 3, v8
	s_add_nc_u64 s[2:3], s[8:9], s[2:3]
	s_load_b64 s[8:9], s[0:1], 0x78
	global_load_b64 v[6:7], v1, s[2:3]
	v_dual_mov_b32 v3, 0 :: v_dual_ashrrev_i32 v5, 31, v4
	s_wait_xcnt 0x0
	s_mov_b32 s3, exec_lo
	s_delay_alu instid0(VALU_DEP_1)
	v_mov_b32_e32 v9, v3
	s_wait_loadcnt 0x0
	v_cmpx_lt_i32_e64 v6, v7
	s_cbranch_execz .LBB18_14
; %bb.7:
	v_mad_nc_u64_u32 v[10:11], s16, v4, s[14:15]
	v_lshlrev_b32_e32 v9, 2, v0
	s_wait_kmcnt 0x0
	v_subrev_nc_u32_e32 v12, s9, v7
	v_subrev_nc_u32_e32 v13, s9, v6
	s_mul_u64 s[4:5], s[6:7], s[24:25]
	s_mov_b32 s6, s25
	v_cmp_gt_i32_e32 vcc_lo, s26, v4
	v_mad_u32 v1, s17, v4, v11
	s_delay_alu instid0(VALU_DEP_1) | instskip(NEXT) | instid1(VALU_DEP_1)
	v_mad_u32 v11, s16, v5, v1
	v_mad_nc_u64_u32 v[0:1], s18, s24, v[10:11]
	v_and_b32_e32 v10, 0x3e0, v9
	v_lshlrev_b32_e32 v9, 2, v8
	s_delay_alu instid0(VALU_DEP_2) | instskip(NEXT) | instid1(VALU_DEP_2)
	v_or_b32_e32 v11, 0x400, v10
	v_or_b32_e32 v14, v10, v9
	s_delay_alu instid0(VALU_DEP_2)
	v_or_b32_e32 v15, v11, v9
	v_mad_u32 v1, s19, s24, v1
	v_mov_b32_e32 v9, 0
	s_branch .LBB18_9
.LBB18_8:                               ;   in Loop: Header=BB18_9 Depth=1
	s_or_b32 exec_lo, exec_lo, s2
	v_add_nc_u32_e32 v13, 8, v13
	s_delay_alu instid0(VALU_DEP_1) | instskip(SKIP_1) | instid1(SALU_CYCLE_1)
	v_cmp_ge_i32_e64 s2, v13, v12
	s_or_b32 s6, s2, s6
	s_and_not1_b32 exec_lo, exec_lo, s6
	s_cbranch_execz .LBB18_13
.LBB18_9:                               ; =>This Inner Loop Header: Depth=1
	v_dual_mov_b32 v7, 0 :: v_dual_add_nc_u32 v6, v8, v13
	v_mov_b32_e32 v16, 0
	s_mov_b32 s7, exec_lo
	s_barrier_signal -1
	s_barrier_wait -1
	v_cmpx_lt_i32_e64 v6, v12
	s_cbranch_execz .LBB18_11
; %bb.10:                               ;   in Loop: Header=BB18_9 Depth=1
	v_ashrrev_i32_e32 v7, 31, v6
	s_delay_alu instid0(VALU_DEP_1) | instskip(NEXT) | instid1(VALU_DEP_1)
	v_add_nc_u64_e32 v[6:7], s[4:5], v[6:7]
	v_add_nc_u64_e32 v[16:17], s[12:13], v[6:7]
	v_lshl_add_u64 v[6:7], v[6:7], 2, s[10:11]
	global_load_b32 v18, v[6:7], off
	global_load_i8 v19, v[16:17], off
	s_wait_loadcnt 0x1
	s_wait_xcnt 0x1
	v_subrev_nc_u32_e32 v7, s9, v18
	s_wait_loadcnt 0x0
	v_cvt_f32_i32_e32 v16, v19
.LBB18_11:                              ;   in Loop: Header=BB18_9 Depth=1
	s_or_b32 exec_lo, exec_lo, s7
	ds_store_b32 v14, v7
	ds_store_b32 v15, v16
	s_wait_dscnt 0x0
	s_barrier_signal -1
	s_barrier_wait -1
	s_and_saveexec_b32 s2, vcc_lo
	s_cbranch_execz .LBB18_8
; %bb.12:                               ;   in Loop: Header=BB18_9 Depth=1
	ds_load_b128 v[16:19], v10
	ds_load_b128 v[20:23], v10 offset:16
	s_wait_dscnt 0x1
	v_dual_mov_b32 v6, v16 :: v_dual_ashrrev_i32 v7, 31, v16
	v_dual_mov_b32 v24, v17 :: v_dual_ashrrev_i32 v25, 31, v17
	v_dual_mov_b32 v26, v19 :: v_dual_ashrrev_i32 v27, 31, v19
	s_delay_alu instid0(VALU_DEP_3) | instskip(SKIP_1) | instid1(VALU_DEP_4)
	v_add_nc_u64_e32 v[6:7], v[0:1], v[6:7]
	v_dual_mov_b32 v16, v18 :: v_dual_ashrrev_i32 v17, 31, v18
	v_add_nc_u64_e32 v[24:25], v[0:1], v[24:25]
	s_delay_alu instid0(VALU_DEP_4)
	v_add_nc_u64_e32 v[18:19], v[0:1], v[26:27]
	s_clause 0x2
	global_load_i8 v28, v[6:7], off
	global_load_i8 v24, v[24:25], off
	;; [unrolled: 1-line block ×3, first 2 shown]
	s_wait_xcnt 0x2
	v_add_nc_u64_e32 v[6:7], v[0:1], v[16:17]
	s_wait_dscnt 0x0
	v_dual_mov_b32 v16, v20 :: v_dual_ashrrev_i32 v17, 31, v20
	s_wait_xcnt 0x0
	v_dual_mov_b32 v18, v22 :: v_dual_ashrrev_i32 v19, 31, v22
	s_delay_alu instid0(VALU_DEP_2)
	v_add_nc_u64_e32 v[16:17], v[0:1], v[16:17]
	global_load_i8 v25, v[6:7], off
	v_add_nc_u64_e32 v[18:19], v[0:1], v[18:19]
	global_load_i8 v27, v[16:17], off
	s_wait_xcnt 0x1
	v_dual_mov_b32 v6, v21 :: v_dual_ashrrev_i32 v7, 31, v21
	s_wait_xcnt 0x0
	v_dual_mov_b32 v16, v23 :: v_dual_ashrrev_i32 v17, 31, v23
	s_delay_alu instid0(VALU_DEP_2)
	v_add_nc_u64_e32 v[6:7], v[0:1], v[6:7]
	global_load_i8 v29, v[6:7], off
	s_wait_xcnt 0x0
	v_add_nc_u64_e32 v[6:7], v[0:1], v[16:17]
	s_clause 0x1
	global_load_i8 v30, v[18:19], off
	global_load_i8 v31, v[6:7], off
	s_wait_xcnt 0x1
	ds_load_b128 v[16:19], v11
	ds_load_b128 v[20:23], v11 offset:16
	s_wait_loadcnt 0x7
	s_wait_xcnt 0x0
	v_cvt_f32_i32_e32 v6, v28
	s_wait_loadcnt 0x6
	v_cvt_f32_i32_e32 v7, v24
	s_wait_dscnt 0x1
	s_delay_alu instid0(VALU_DEP_2) | instskip(NEXT) | instid1(VALU_DEP_1)
	v_fmac_f32_e32 v9, v16, v6
	v_fmac_f32_e32 v9, v17, v7
	s_wait_loadcnt 0x5
	v_cvt_f32_i32_e32 v7, v26
	s_wait_loadcnt 0x4
	v_cvt_f32_i32_e32 v6, v25
	s_delay_alu instid0(VALU_DEP_1) | instskip(SKIP_2) | instid1(VALU_DEP_2)
	v_fmac_f32_e32 v9, v18, v6
	s_wait_loadcnt 0x3
	v_cvt_f32_i32_e32 v6, v27
	v_fmac_f32_e32 v9, v19, v7
	s_wait_dscnt 0x0
	s_delay_alu instid0(VALU_DEP_1) | instskip(SKIP_2) | instid1(VALU_DEP_1)
	v_fmac_f32_e32 v9, v20, v6
	s_wait_loadcnt 0x2
	v_cvt_f32_i32_e32 v7, v29
	v_fmac_f32_e32 v9, v21, v7
	s_wait_loadcnt 0x1
	v_cvt_f32_i32_e32 v6, v30
	s_delay_alu instid0(VALU_DEP_1) | instskip(SKIP_2) | instid1(VALU_DEP_1)
	v_fmac_f32_e32 v9, v22, v6
	s_wait_loadcnt 0x0
	v_cvt_f32_i32_e32 v6, v31
	v_fmac_f32_e32 v9, v23, v6
	s_branch .LBB18_8
.LBB18_13:
	s_or_b32 exec_lo, exec_lo, s6
.LBB18_14:
	s_delay_alu instid0(SALU_CYCLE_1)
	s_or_b32 exec_lo, exec_lo, s3
	v_cmp_gt_i32_e32 vcc_lo, s26, v4
	s_and_b32 exec_lo, exec_lo, vcc_lo
	s_cbranch_execz .LBB18_21
; %bb.15:
	s_clause 0x1
	s_load_b64 s[10:11], s[0:1], 0x70
	s_load_b128 s[4:7], s[0:1], 0x60
	s_wait_kmcnt 0x0
	s_cmp_lg_u32 s8, 1
	v_mul_f32_e32 v0, s20, v9
	s_cselect_b32 s2, -1, 0
	s_cmp_neq_f32 s22, 0
	s_mul_u64 s[0:1], s[10:11], s[24:25]
	s_cbranch_scc0 .LBB18_22
; %bb.16:
	s_and_b32 vcc_lo, exec_lo, s2
	s_mov_b32 s3, -1
	s_cbranch_vccz .LBB18_18
; %bb.17:
	v_mul_u64_e32 v[6:7], s[6:7], v[2:3]
	s_mov_b32 s3, 0
	s_delay_alu instid0(VALU_DEP_1) | instskip(NEXT) | instid1(VALU_DEP_1)
	v_lshl_add_u64 v[6:7], v[6:7], 2, s[4:5]
	v_lshl_add_u64 v[6:7], v[4:5], 2, v[6:7]
	s_delay_alu instid0(VALU_DEP_1)
	v_lshl_add_u64 v[6:7], s[0:1], 2, v[6:7]
	global_load_b32 v1, v[6:7], off
	s_wait_loadcnt 0x0
	v_fma_f32 v1, s22, v1, v0
	global_store_b32 v[6:7], v1, off
.LBB18_18:
	s_and_not1_b32 vcc_lo, exec_lo, s3
	s_cbranch_vccnz .LBB18_20
; %bb.19:
	s_wait_xcnt 0x0
	v_mul_u64_e32 v[6:7], s[6:7], v[4:5]
	v_dual_mov_b32 v9, 0 :: v_dual_lshlrev_b32 v8, 2, v2
	s_delay_alu instid0(VALU_DEP_2) | instskip(NEXT) | instid1(VALU_DEP_1)
	v_lshl_add_u64 v[6:7], v[6:7], 2, s[4:5]
	v_add_nc_u64_e32 v[6:7], v[6:7], v[8:9]
	s_delay_alu instid0(VALU_DEP_1)
	v_lshl_add_u64 v[6:7], s[0:1], 2, v[6:7]
	global_load_b32 v1, v[6:7], off
	s_wait_loadcnt 0x0
	v_fma_f32 v1, s22, v1, v0
	global_store_b32 v[6:7], v1, off
.LBB18_20:
	s_cbranch_execz .LBB18_23
.LBB18_21:
	s_endpgm
.LBB18_22:
.LBB18_23:
	s_and_b32 vcc_lo, exec_lo, s2
	s_mov_b32 s2, -1
	s_cbranch_vccz .LBB18_25
; %bb.24:
	s_wait_xcnt 0x0
	v_mul_u64_e32 v[6:7], s[6:7], v[2:3]
	s_mov_b32 s2, 0
	s_delay_alu instid0(VALU_DEP_1) | instskip(NEXT) | instid1(VALU_DEP_1)
	v_lshl_add_u64 v[6:7], v[6:7], 2, s[4:5]
	v_lshl_add_u64 v[6:7], v[4:5], 2, v[6:7]
	s_delay_alu instid0(VALU_DEP_1)
	v_lshl_add_u64 v[6:7], s[0:1], 2, v[6:7]
	global_store_b32 v[6:7], v0, off
.LBB18_25:
	s_and_not1_b32 vcc_lo, exec_lo, s2
	s_cbranch_vccnz .LBB18_21
; %bb.26:
	v_mul_u64_e32 v[4:5], s[6:7], v[4:5]
	v_dual_mov_b32 v3, 0 :: v_dual_lshlrev_b32 v2, 2, v2
	s_delay_alu instid0(VALU_DEP_2) | instskip(NEXT) | instid1(VALU_DEP_1)
	v_lshl_add_u64 v[4:5], v[4:5], 2, s[4:5]
	v_add_nc_u64_e32 v[2:3], v[4:5], v[2:3]
	s_delay_alu instid0(VALU_DEP_1)
	v_lshl_add_u64 v[2:3], s[0:1], 2, v[2:3]
	global_store_b32 v[2:3], v0, off
	s_endpgm
	.section	.rodata,"a",@progbits
	.p2align	6, 0x0
	.amdhsa_kernel _ZN9rocsparse31csrmmnn_row_split_shared_kernelILj256ELj8EfiiaafEEvNS_24const_host_device_scalarIT1_EES3_bbbT3_S4_llPKT2_PKS4_PKT4_PKT5_llPT6_ll16rocsparse_order_21rocsparse_index_base_
		.amdhsa_group_segment_fixed_size 2048
		.amdhsa_private_segment_fixed_size 0
		.amdhsa_kernarg_size 128
		.amdhsa_user_sgpr_count 2
		.amdhsa_user_sgpr_dispatch_ptr 0
		.amdhsa_user_sgpr_queue_ptr 0
		.amdhsa_user_sgpr_kernarg_segment_ptr 1
		.amdhsa_user_sgpr_dispatch_id 0
		.amdhsa_user_sgpr_kernarg_preload_length 0
		.amdhsa_user_sgpr_kernarg_preload_offset 0
		.amdhsa_user_sgpr_private_segment_size 0
		.amdhsa_wavefront_size32 1
		.amdhsa_uses_dynamic_stack 0
		.amdhsa_enable_private_segment 0
		.amdhsa_system_sgpr_workgroup_id_x 1
		.amdhsa_system_sgpr_workgroup_id_y 1
		.amdhsa_system_sgpr_workgroup_id_z 1
		.amdhsa_system_sgpr_workgroup_info 0
		.amdhsa_system_vgpr_workitem_id 0
		.amdhsa_next_free_vgpr 32
		.amdhsa_next_free_sgpr 28
		.amdhsa_named_barrier_count 0
		.amdhsa_reserve_vcc 1
		.amdhsa_float_round_mode_32 0
		.amdhsa_float_round_mode_16_64 0
		.amdhsa_float_denorm_mode_32 3
		.amdhsa_float_denorm_mode_16_64 3
		.amdhsa_fp16_overflow 0
		.amdhsa_memory_ordered 1
		.amdhsa_forward_progress 1
		.amdhsa_inst_pref_size 12
		.amdhsa_round_robin_scheduling 0
		.amdhsa_exception_fp_ieee_invalid_op 0
		.amdhsa_exception_fp_denorm_src 0
		.amdhsa_exception_fp_ieee_div_zero 0
		.amdhsa_exception_fp_ieee_overflow 0
		.amdhsa_exception_fp_ieee_underflow 0
		.amdhsa_exception_fp_ieee_inexact 0
		.amdhsa_exception_int_div_zero 0
	.end_amdhsa_kernel
	.section	.text._ZN9rocsparse31csrmmnn_row_split_shared_kernelILj256ELj8EfiiaafEEvNS_24const_host_device_scalarIT1_EES3_bbbT3_S4_llPKT2_PKS4_PKT4_PKT5_llPT6_ll16rocsparse_order_21rocsparse_index_base_,"axG",@progbits,_ZN9rocsparse31csrmmnn_row_split_shared_kernelILj256ELj8EfiiaafEEvNS_24const_host_device_scalarIT1_EES3_bbbT3_S4_llPKT2_PKS4_PKT4_PKT5_llPT6_ll16rocsparse_order_21rocsparse_index_base_,comdat
.Lfunc_end18:
	.size	_ZN9rocsparse31csrmmnn_row_split_shared_kernelILj256ELj8EfiiaafEEvNS_24const_host_device_scalarIT1_EES3_bbbT3_S4_llPKT2_PKS4_PKT4_PKT5_llPT6_ll16rocsparse_order_21rocsparse_index_base_, .Lfunc_end18-_ZN9rocsparse31csrmmnn_row_split_shared_kernelILj256ELj8EfiiaafEEvNS_24const_host_device_scalarIT1_EES3_bbbT3_S4_llPKT2_PKS4_PKT4_PKT5_llPT6_ll16rocsparse_order_21rocsparse_index_base_
                                        ; -- End function
	.set _ZN9rocsparse31csrmmnn_row_split_shared_kernelILj256ELj8EfiiaafEEvNS_24const_host_device_scalarIT1_EES3_bbbT3_S4_llPKT2_PKS4_PKT4_PKT5_llPT6_ll16rocsparse_order_21rocsparse_index_base_.num_vgpr, 32
	.set _ZN9rocsparse31csrmmnn_row_split_shared_kernelILj256ELj8EfiiaafEEvNS_24const_host_device_scalarIT1_EES3_bbbT3_S4_llPKT2_PKS4_PKT4_PKT5_llPT6_ll16rocsparse_order_21rocsparse_index_base_.num_agpr, 0
	.set _ZN9rocsparse31csrmmnn_row_split_shared_kernelILj256ELj8EfiiaafEEvNS_24const_host_device_scalarIT1_EES3_bbbT3_S4_llPKT2_PKS4_PKT4_PKT5_llPT6_ll16rocsparse_order_21rocsparse_index_base_.numbered_sgpr, 28
	.set _ZN9rocsparse31csrmmnn_row_split_shared_kernelILj256ELj8EfiiaafEEvNS_24const_host_device_scalarIT1_EES3_bbbT3_S4_llPKT2_PKS4_PKT4_PKT5_llPT6_ll16rocsparse_order_21rocsparse_index_base_.num_named_barrier, 0
	.set _ZN9rocsparse31csrmmnn_row_split_shared_kernelILj256ELj8EfiiaafEEvNS_24const_host_device_scalarIT1_EES3_bbbT3_S4_llPKT2_PKS4_PKT4_PKT5_llPT6_ll16rocsparse_order_21rocsparse_index_base_.private_seg_size, 0
	.set _ZN9rocsparse31csrmmnn_row_split_shared_kernelILj256ELj8EfiiaafEEvNS_24const_host_device_scalarIT1_EES3_bbbT3_S4_llPKT2_PKS4_PKT4_PKT5_llPT6_ll16rocsparse_order_21rocsparse_index_base_.uses_vcc, 1
	.set _ZN9rocsparse31csrmmnn_row_split_shared_kernelILj256ELj8EfiiaafEEvNS_24const_host_device_scalarIT1_EES3_bbbT3_S4_llPKT2_PKS4_PKT4_PKT5_llPT6_ll16rocsparse_order_21rocsparse_index_base_.uses_flat_scratch, 0
	.set _ZN9rocsparse31csrmmnn_row_split_shared_kernelILj256ELj8EfiiaafEEvNS_24const_host_device_scalarIT1_EES3_bbbT3_S4_llPKT2_PKS4_PKT4_PKT5_llPT6_ll16rocsparse_order_21rocsparse_index_base_.has_dyn_sized_stack, 0
	.set _ZN9rocsparse31csrmmnn_row_split_shared_kernelILj256ELj8EfiiaafEEvNS_24const_host_device_scalarIT1_EES3_bbbT3_S4_llPKT2_PKS4_PKT4_PKT5_llPT6_ll16rocsparse_order_21rocsparse_index_base_.has_recursion, 0
	.set _ZN9rocsparse31csrmmnn_row_split_shared_kernelILj256ELj8EfiiaafEEvNS_24const_host_device_scalarIT1_EES3_bbbT3_S4_llPKT2_PKS4_PKT4_PKT5_llPT6_ll16rocsparse_order_21rocsparse_index_base_.has_indirect_call, 0
	.section	.AMDGPU.csdata,"",@progbits
; Kernel info:
; codeLenInByte = 1460
; TotalNumSgprs: 30
; NumVgprs: 32
; ScratchSize: 0
; MemoryBound: 0
; FloatMode: 240
; IeeeMode: 1
; LDSByteSize: 2048 bytes/workgroup (compile time only)
; SGPRBlocks: 0
; VGPRBlocks: 1
; NumSGPRsForWavesPerEU: 30
; NumVGPRsForWavesPerEU: 32
; NamedBarCnt: 0
; Occupancy: 16
; WaveLimiterHint : 1
; COMPUTE_PGM_RSRC2:SCRATCH_EN: 0
; COMPUTE_PGM_RSRC2:USER_SGPR: 2
; COMPUTE_PGM_RSRC2:TRAP_HANDLER: 0
; COMPUTE_PGM_RSRC2:TGID_X_EN: 1
; COMPUTE_PGM_RSRC2:TGID_Y_EN: 1
; COMPUTE_PGM_RSRC2:TGID_Z_EN: 1
; COMPUTE_PGM_RSRC2:TIDIG_COMP_CNT: 0
	.section	.text._ZN9rocsparse31csrmmnn_row_split_shared_kernelILj256ELj8EfliaafEEvNS_24const_host_device_scalarIT1_EES3_bbbT3_S4_llPKT2_PKS4_PKT4_PKT5_llPT6_ll16rocsparse_order_21rocsparse_index_base_,"axG",@progbits,_ZN9rocsparse31csrmmnn_row_split_shared_kernelILj256ELj8EfliaafEEvNS_24const_host_device_scalarIT1_EES3_bbbT3_S4_llPKT2_PKS4_PKT4_PKT5_llPT6_ll16rocsparse_order_21rocsparse_index_base_,comdat
	.protected	_ZN9rocsparse31csrmmnn_row_split_shared_kernelILj256ELj8EfliaafEEvNS_24const_host_device_scalarIT1_EES3_bbbT3_S4_llPKT2_PKS4_PKT4_PKT5_llPT6_ll16rocsparse_order_21rocsparse_index_base_ ; -- Begin function _ZN9rocsparse31csrmmnn_row_split_shared_kernelILj256ELj8EfliaafEEvNS_24const_host_device_scalarIT1_EES3_bbbT3_S4_llPKT2_PKS4_PKT4_PKT5_llPT6_ll16rocsparse_order_21rocsparse_index_base_
	.globl	_ZN9rocsparse31csrmmnn_row_split_shared_kernelILj256ELj8EfliaafEEvNS_24const_host_device_scalarIT1_EES3_bbbT3_S4_llPKT2_PKS4_PKT4_PKT5_llPT6_ll16rocsparse_order_21rocsparse_index_base_
	.p2align	8
	.type	_ZN9rocsparse31csrmmnn_row_split_shared_kernelILj256ELj8EfliaafEEvNS_24const_host_device_scalarIT1_EES3_bbbT3_S4_llPKT2_PKS4_PKT4_PKT5_llPT6_ll16rocsparse_order_21rocsparse_index_base_,@function
_ZN9rocsparse31csrmmnn_row_split_shared_kernelILj256ELj8EfliaafEEvNS_24const_host_device_scalarIT1_EES3_bbbT3_S4_llPKT2_PKS4_PKT4_PKT5_llPT6_ll16rocsparse_order_21rocsparse_index_base_: ; @_ZN9rocsparse31csrmmnn_row_split_shared_kernelILj256ELj8EfliaafEEvNS_24const_host_device_scalarIT1_EES3_bbbT3_S4_llPKT2_PKS4_PKT4_PKT5_llPT6_ll16rocsparse_order_21rocsparse_index_base_
; %bb.0:
	s_clause 0x1
	s_load_b96 s[24:26], s[0:1], 0x10
	s_load_b128 s[20:23], s[0:1], 0x0
	s_wait_kmcnt 0x0
	s_bitcmp1_b32 s24, 0
	s_cselect_b32 s2, -1, 0
	s_delay_alu instid0(SALU_CYCLE_1)
	s_and_b32 vcc_lo, exec_lo, s2
	s_xor_b32 s2, s2, -1
	s_cbranch_vccnz .LBB19_2
; %bb.1:
	s_load_b32 s20, s[20:21], 0x0
.LBB19_2:
	s_and_not1_b32 vcc_lo, exec_lo, s2
	s_cbranch_vccnz .LBB19_4
; %bb.3:
	s_load_b32 s22, s[22:23], 0x0
.LBB19_4:
	s_wait_kmcnt 0x0
	s_cmp_eq_f32 s20, 0
	s_cselect_b32 s2, -1, 0
	s_cmp_eq_f32 s22, 1.0
	s_cselect_b32 s3, -1, 0
	s_delay_alu instid0(SALU_CYCLE_1) | instskip(NEXT) | instid1(SALU_CYCLE_1)
	s_and_b32 s2, s2, s3
	s_and_b32 vcc_lo, exec_lo, s2
	s_cbranch_vccnz .LBB19_21
; %bb.5:
	s_bfe_u32 s2, ttmp6, 0x4000c
	s_and_b32 s3, ttmp6, 15
	s_add_co_i32 s2, s2, 1
	s_delay_alu instid0(SALU_CYCLE_1) | instskip(SKIP_4) | instid1(SALU_CYCLE_1)
	s_mul_i32 s4, ttmp9, s2
	s_getreg_b32 s2, hwreg(HW_REG_IB_STS2, 6, 4)
	s_add_co_i32 s3, s3, s4
	s_cmp_eq_u32 s2, 0
	s_cselect_b32 s3, ttmp9, s3
	v_lshl_or_b32 v1, s3, 8, v0
	s_mov_b32 s3, exec_lo
	s_delay_alu instid0(VALU_DEP_1) | instskip(NEXT) | instid1(VALU_DEP_1)
	v_lshrrev_b32_e32 v6, 3, v1
	v_cmpx_gt_i32_e64 s25, v6
	s_cbranch_execz .LBB19_21
; %bb.6:
	s_load_b512 s[4:19], s[0:1], 0x20
	s_bfe_u32 s3, ttmp6, 0x40014
	s_bfe_u32 s23, ttmp6, 0x40010
	s_lshr_b32 s21, ttmp7, 16
	s_add_co_i32 s3, s3, 1
	s_and_b32 s27, ttmp7, 0xffff
	s_add_co_i32 s23, s23, 1
	s_mul_i32 s3, s21, s3
	s_bfe_u32 s24, ttmp6, 0x40008
	s_mul_i32 s23, s27, s23
	s_bfe_u32 s25, ttmp6, 0x40004
	s_add_co_i32 s24, s24, s3
	s_add_co_i32 s3, s25, s23
	s_cmp_eq_u32 s2, 0
	s_mov_b32 s25, 0
	s_cselect_b32 s24, s21, s24
	s_cselect_b32 s21, s27, s3
	v_dual_lshlrev_b32 v1, 3, v6 :: v_dual_bitop2_b32 v10, 7, v0 bitop3:0x40
	s_wait_kmcnt 0x0
	s_mul_u64 s[2:3], s[4:5], s[24:25]
	s_delay_alu instid0(SALU_CYCLE_1) | instskip(NEXT) | instid1(VALU_DEP_1)
	s_lshl_b64 s[2:3], s[2:3], 3
	v_lshl_or_b32 v8, s21, 3, v10
	s_add_nc_u64 s[2:3], s[8:9], s[2:3]
	s_load_b64 s[8:9], s[0:1], 0x78
	global_load_b128 v[2:5], v1, s[2:3]
	v_dual_mov_b32 v7, 0 :: v_dual_ashrrev_i32 v9, 31, v8
	s_wait_xcnt 0x0
	s_mov_b32 s3, exec_lo
	s_delay_alu instid0(VALU_DEP_1)
	v_mov_b32_e32 v16, v7
	s_wait_loadcnt 0x0
	v_cmpx_lt_i64_e64 v[2:3], v[4:5]
	s_cbranch_execz .LBB19_14
; %bb.7:
	v_mad_nc_u64_u32 v[12:13], s16, v8, s[14:15]
	v_mad_nc_u64_u32 v[14:15], s6, s24, v[2:3]
	v_dual_mov_b32 v11, 0 :: v_dual_lshlrev_b32 v16, 2, v0
	s_wait_kmcnt 0x0
	s_mov_b32 s4, s9
	s_mov_b32 s5, s25
	v_cmp_gt_i32_e32 vcc_lo, s26, v8
	v_and_b32_e32 v17, 0x3e0, v16
	v_sub_nc_u64_e64 v[4:5], v[4:5], s[4:5]
	v_sub_nc_u64_e64 v[2:3], v[2:3], s[4:5]
	v_lshlrev_b32_e32 v16, 2, v10
	v_mad_u32 v1, s17, v8, v13
	v_mad_u32 v15, s7, s24, v15
	v_or_b32_e32 v18, 0x400, v17
	s_delay_alu instid0(VALU_DEP_4) | instskip(NEXT) | instid1(VALU_DEP_2)
	v_or_b32_e32 v19, v17, v16
	v_dual_mov_b32 v16, v11 :: v_dual_bitop2_b32 v20, v18, v16 bitop3:0x54
	v_mad_u32 v13, s16, v9, v1
	s_delay_alu instid0(VALU_DEP_1) | instskip(SKIP_1) | instid1(VALU_DEP_1)
	v_mad_nc_u64_u32 v[0:1], s18, s24, v[12:13]
	v_add_nc_u64_e32 v[12:13], v[14:15], v[10:11]
	v_sub_nc_u64_e64 v[14:15], v[12:13], s[4:5]
	s_mul_u64 s[4:5], s[6:7], s[24:25]
	s_delay_alu instid0(SALU_CYCLE_1) | instskip(NEXT) | instid1(VALU_DEP_3)
	s_add_nc_u64 s[4:5], s[12:13], s[4:5]
	v_mad_u32 v1, s19, s24, v1
	v_add_nc_u64_e32 v[12:13], s[4:5], v[10:11]
	s_mov_b32 s4, s25
	s_delay_alu instid0(VALU_DEP_3)
	v_lshl_add_u64 v[14:15], v[14:15], 2, s[10:11]
	s_branch .LBB19_9
.LBB19_8:                               ;   in Loop: Header=BB19_9 Depth=1
	s_or_b32 exec_lo, exec_lo, s2
	v_add_nc_u64_e32 v[2:3], 8, v[2:3]
	v_add_nc_u64_e32 v[14:15], 32, v[14:15]
	s_delay_alu instid0(VALU_DEP_2) | instskip(SKIP_1) | instid1(SALU_CYCLE_1)
	v_cmp_ge_i64_e64 s2, v[2:3], v[4:5]
	s_or_b32 s4, s2, s4
	s_and_not1_b32 exec_lo, exec_lo, s4
	s_cbranch_execz .LBB19_13
.LBB19_9:                               ; =>This Inner Loop Header: Depth=1
	v_add_nc_u64_e32 v[22:23], v[10:11], v[2:3]
	v_mov_b32_e32 v21, 0
	s_barrier_signal -1
	s_barrier_wait -1
	s_delay_alu instid0(VALU_DEP_2)
	v_cmp_lt_i64_e64 s2, v[22:23], v[4:5]
	v_mov_b32_e32 v22, 0
	s_and_saveexec_b32 s5, s2
	s_cbranch_execz .LBB19_11
; %bb.10:                               ;   in Loop: Header=BB19_9 Depth=1
	v_add_nc_u64_e32 v[22:23], v[12:13], v[2:3]
	global_load_b32 v21, v[14:15], off
	global_load_i8 v24, v[22:23], off
	s_wait_loadcnt 0x1
	v_subrev_nc_u32_e32 v21, s9, v21
	s_wait_loadcnt 0x0
	v_cvt_f32_i32_e32 v22, v24
.LBB19_11:                              ;   in Loop: Header=BB19_9 Depth=1
	s_or_b32 exec_lo, exec_lo, s5
	ds_store_b32 v19, v21
	ds_store_b32 v20, v22
	s_wait_dscnt 0x0
	s_barrier_signal -1
	s_barrier_wait -1
	s_and_saveexec_b32 s2, vcc_lo
	s_cbranch_execz .LBB19_8
; %bb.12:                               ;   in Loop: Header=BB19_9 Depth=1
	ds_load_b128 v[22:25], v17
	ds_load_b128 v[26:29], v17 offset:16
	s_wait_dscnt 0x1
	v_dual_mov_b32 v30, v22 :: v_dual_ashrrev_i32 v31, 31, v22
	v_dual_mov_b32 v32, v23 :: v_dual_ashrrev_i32 v33, 31, v23
	;; [unrolled: 1-line block ×3, first 2 shown]
	s_delay_alu instid0(VALU_DEP_3) | instskip(SKIP_1) | instid1(VALU_DEP_4)
	v_add_nc_u64_e32 v[22:23], v[0:1], v[30:31]
	v_dual_mov_b32 v30, v24 :: v_dual_ashrrev_i32 v31, 31, v24
	v_add_nc_u64_e32 v[32:33], v[0:1], v[32:33]
	s_wait_dscnt 0x0
	v_dual_mov_b32 v24, v26 :: v_dual_ashrrev_i32 v25, 31, v26
	v_mov_b32_e32 v26, v28
	s_clause 0x1
	global_load_i8 v21, v[22:23], off
	global_load_i8 v32, v[32:33], off
	s_wait_xcnt 0x1
	v_add_nc_u64_e32 v[22:23], v[0:1], v[30:31]
	v_add_nc_u64_e32 v[30:31], v[0:1], v[34:35]
	;; [unrolled: 1-line block ×3, first 2 shown]
	s_clause 0x2
	global_load_i8 v33, v[22:23], off
	global_load_i8 v30, v[30:31], off
	;; [unrolled: 1-line block ×3, first 2 shown]
	v_dual_mov_b32 v22, v27 :: v_dual_ashrrev_i32 v23, 31, v27
	s_wait_xcnt 0x0
	v_dual_ashrrev_i32 v27, 31, v28 :: v_dual_ashrrev_i32 v25, 31, v29
	v_mov_b32_e32 v24, v29
	s_delay_alu instid0(VALU_DEP_3) | instskip(NEXT) | instid1(VALU_DEP_3)
	v_add_nc_u64_e32 v[22:23], v[0:1], v[22:23]
	v_add_nc_u64_e32 v[26:27], v[0:1], v[26:27]
	global_load_i8 v34, v[22:23], off
	s_wait_xcnt 0x0
	v_add_nc_u64_e32 v[22:23], v[0:1], v[24:25]
	s_clause 0x1
	global_load_i8 v35, v[26:27], off
	global_load_i8 v36, v[22:23], off
	s_wait_xcnt 0x0
	ds_load_b128 v[22:25], v18
	ds_load_b128 v[26:29], v18 offset:16
	s_wait_loadcnt 0x7
	v_cvt_f32_i32_e32 v21, v21
	s_wait_loadcnt 0x6
	v_cvt_f32_i32_e32 v32, v32
	s_wait_dscnt 0x1
	s_delay_alu instid0(VALU_DEP_2) | instskip(NEXT) | instid1(VALU_DEP_1)
	v_fmac_f32_e32 v16, v22, v21
	v_fmac_f32_e32 v16, v23, v32
	s_wait_loadcnt 0x5
	v_cvt_f32_i32_e32 v21, v33
	s_wait_loadcnt 0x4
	v_cvt_f32_i32_e32 v22, v30
	s_delay_alu instid0(VALU_DEP_2) | instskip(SKIP_2) | instid1(VALU_DEP_2)
	v_fmac_f32_e32 v16, v24, v21
	s_wait_loadcnt 0x3
	v_cvt_f32_i32_e32 v21, v31
	v_fmac_f32_e32 v16, v25, v22
	s_wait_dscnt 0x0
	s_delay_alu instid0(VALU_DEP_1) | instskip(SKIP_2) | instid1(VALU_DEP_1)
	v_fmac_f32_e32 v16, v26, v21
	s_wait_loadcnt 0x2
	v_cvt_f32_i32_e32 v22, v34
	v_fmac_f32_e32 v16, v27, v22
	s_wait_loadcnt 0x1
	v_cvt_f32_i32_e32 v21, v35
	s_delay_alu instid0(VALU_DEP_1) | instskip(SKIP_2) | instid1(VALU_DEP_1)
	v_fmac_f32_e32 v16, v28, v21
	s_wait_loadcnt 0x0
	v_cvt_f32_i32_e32 v21, v36
	v_fmac_f32_e32 v16, v29, v21
	s_branch .LBB19_8
.LBB19_13:
	s_or_b32 exec_lo, exec_lo, s4
.LBB19_14:
	s_delay_alu instid0(SALU_CYCLE_1)
	s_or_b32 exec_lo, exec_lo, s3
	v_cmp_gt_i32_e32 vcc_lo, s26, v8
	s_and_b32 exec_lo, exec_lo, vcc_lo
	s_cbranch_execz .LBB19_21
; %bb.15:
	s_clause 0x1
	s_load_b64 s[10:11], s[0:1], 0x70
	s_load_b128 s[4:7], s[0:1], 0x60
	s_wait_kmcnt 0x0
	s_cmp_lg_u32 s8, 1
	v_mul_f32_e32 v0, s20, v16
	s_cselect_b32 s2, -1, 0
	s_cmp_neq_f32 s22, 0
	s_mul_u64 s[0:1], s[10:11], s[24:25]
	s_cbranch_scc0 .LBB19_22
; %bb.16:
	s_and_b32 vcc_lo, exec_lo, s2
	s_mov_b32 s3, -1
	s_cbranch_vccz .LBB19_18
; %bb.17:
	v_mul_u64_e32 v[2:3], s[6:7], v[6:7]
	s_mov_b32 s3, 0
	s_delay_alu instid0(VALU_DEP_1) | instskip(NEXT) | instid1(VALU_DEP_1)
	v_lshl_add_u64 v[2:3], v[2:3], 2, s[4:5]
	v_lshl_add_u64 v[2:3], v[8:9], 2, v[2:3]
	s_delay_alu instid0(VALU_DEP_1)
	v_lshl_add_u64 v[2:3], s[0:1], 2, v[2:3]
	global_load_b32 v1, v[2:3], off
	s_wait_loadcnt 0x0
	v_fma_f32 v1, s22, v1, v0
	global_store_b32 v[2:3], v1, off
.LBB19_18:
	s_and_not1_b32 vcc_lo, exec_lo, s3
	s_cbranch_vccnz .LBB19_20
; %bb.19:
	s_wait_xcnt 0x0
	v_mul_u64_e32 v[2:3], s[6:7], v[8:9]
	v_dual_mov_b32 v5, 0 :: v_dual_lshlrev_b32 v4, 2, v6
	s_delay_alu instid0(VALU_DEP_2) | instskip(NEXT) | instid1(VALU_DEP_1)
	v_lshl_add_u64 v[2:3], v[2:3], 2, s[4:5]
	v_add_nc_u64_e32 v[2:3], v[2:3], v[4:5]
	s_delay_alu instid0(VALU_DEP_1)
	v_lshl_add_u64 v[2:3], s[0:1], 2, v[2:3]
	global_load_b32 v1, v[2:3], off
	s_wait_loadcnt 0x0
	v_fma_f32 v1, s22, v1, v0
	global_store_b32 v[2:3], v1, off
.LBB19_20:
	s_cbranch_execz .LBB19_23
.LBB19_21:
	s_endpgm
.LBB19_22:
.LBB19_23:
	s_and_b32 vcc_lo, exec_lo, s2
	s_mov_b32 s2, -1
	s_cbranch_vccz .LBB19_25
; %bb.24:
	s_wait_xcnt 0x0
	v_mul_u64_e32 v[2:3], s[6:7], v[6:7]
	s_mov_b32 s2, 0
	s_delay_alu instid0(VALU_DEP_1) | instskip(NEXT) | instid1(VALU_DEP_1)
	v_lshl_add_u64 v[2:3], v[2:3], 2, s[4:5]
	v_lshl_add_u64 v[2:3], v[8:9], 2, v[2:3]
	s_delay_alu instid0(VALU_DEP_1)
	v_lshl_add_u64 v[2:3], s[0:1], 2, v[2:3]
	global_store_b32 v[2:3], v0, off
.LBB19_25:
	s_and_not1_b32 vcc_lo, exec_lo, s2
	s_cbranch_vccnz .LBB19_21
; %bb.26:
	s_wait_xcnt 0x0
	v_mul_u64_e32 v[2:3], s[6:7], v[8:9]
	v_dual_mov_b32 v5, 0 :: v_dual_lshlrev_b32 v4, 2, v6
	s_delay_alu instid0(VALU_DEP_2) | instskip(NEXT) | instid1(VALU_DEP_1)
	v_lshl_add_u64 v[2:3], v[2:3], 2, s[4:5]
	v_add_nc_u64_e32 v[2:3], v[2:3], v[4:5]
	s_delay_alu instid0(VALU_DEP_1)
	v_lshl_add_u64 v[2:3], s[0:1], 2, v[2:3]
	global_store_b32 v[2:3], v0, off
	s_endpgm
	.section	.rodata,"a",@progbits
	.p2align	6, 0x0
	.amdhsa_kernel _ZN9rocsparse31csrmmnn_row_split_shared_kernelILj256ELj8EfliaafEEvNS_24const_host_device_scalarIT1_EES3_bbbT3_S4_llPKT2_PKS4_PKT4_PKT5_llPT6_ll16rocsparse_order_21rocsparse_index_base_
		.amdhsa_group_segment_fixed_size 2048
		.amdhsa_private_segment_fixed_size 0
		.amdhsa_kernarg_size 128
		.amdhsa_user_sgpr_count 2
		.amdhsa_user_sgpr_dispatch_ptr 0
		.amdhsa_user_sgpr_queue_ptr 0
		.amdhsa_user_sgpr_kernarg_segment_ptr 1
		.amdhsa_user_sgpr_dispatch_id 0
		.amdhsa_user_sgpr_kernarg_preload_length 0
		.amdhsa_user_sgpr_kernarg_preload_offset 0
		.amdhsa_user_sgpr_private_segment_size 0
		.amdhsa_wavefront_size32 1
		.amdhsa_uses_dynamic_stack 0
		.amdhsa_enable_private_segment 0
		.amdhsa_system_sgpr_workgroup_id_x 1
		.amdhsa_system_sgpr_workgroup_id_y 1
		.amdhsa_system_sgpr_workgroup_id_z 1
		.amdhsa_system_sgpr_workgroup_info 0
		.amdhsa_system_vgpr_workitem_id 0
		.amdhsa_next_free_vgpr 37
		.amdhsa_next_free_sgpr 28
		.amdhsa_named_barrier_count 0
		.amdhsa_reserve_vcc 1
		.amdhsa_float_round_mode_32 0
		.amdhsa_float_round_mode_16_64 0
		.amdhsa_float_denorm_mode_32 3
		.amdhsa_float_denorm_mode_16_64 3
		.amdhsa_fp16_overflow 0
		.amdhsa_memory_ordered 1
		.amdhsa_forward_progress 1
		.amdhsa_inst_pref_size 12
		.amdhsa_round_robin_scheduling 0
		.amdhsa_exception_fp_ieee_invalid_op 0
		.amdhsa_exception_fp_denorm_src 0
		.amdhsa_exception_fp_ieee_div_zero 0
		.amdhsa_exception_fp_ieee_overflow 0
		.amdhsa_exception_fp_ieee_underflow 0
		.amdhsa_exception_fp_ieee_inexact 0
		.amdhsa_exception_int_div_zero 0
	.end_amdhsa_kernel
	.section	.text._ZN9rocsparse31csrmmnn_row_split_shared_kernelILj256ELj8EfliaafEEvNS_24const_host_device_scalarIT1_EES3_bbbT3_S4_llPKT2_PKS4_PKT4_PKT5_llPT6_ll16rocsparse_order_21rocsparse_index_base_,"axG",@progbits,_ZN9rocsparse31csrmmnn_row_split_shared_kernelILj256ELj8EfliaafEEvNS_24const_host_device_scalarIT1_EES3_bbbT3_S4_llPKT2_PKS4_PKT4_PKT5_llPT6_ll16rocsparse_order_21rocsparse_index_base_,comdat
.Lfunc_end19:
	.size	_ZN9rocsparse31csrmmnn_row_split_shared_kernelILj256ELj8EfliaafEEvNS_24const_host_device_scalarIT1_EES3_bbbT3_S4_llPKT2_PKS4_PKT4_PKT5_llPT6_ll16rocsparse_order_21rocsparse_index_base_, .Lfunc_end19-_ZN9rocsparse31csrmmnn_row_split_shared_kernelILj256ELj8EfliaafEEvNS_24const_host_device_scalarIT1_EES3_bbbT3_S4_llPKT2_PKS4_PKT4_PKT5_llPT6_ll16rocsparse_order_21rocsparse_index_base_
                                        ; -- End function
	.set _ZN9rocsparse31csrmmnn_row_split_shared_kernelILj256ELj8EfliaafEEvNS_24const_host_device_scalarIT1_EES3_bbbT3_S4_llPKT2_PKS4_PKT4_PKT5_llPT6_ll16rocsparse_order_21rocsparse_index_base_.num_vgpr, 37
	.set _ZN9rocsparse31csrmmnn_row_split_shared_kernelILj256ELj8EfliaafEEvNS_24const_host_device_scalarIT1_EES3_bbbT3_S4_llPKT2_PKS4_PKT4_PKT5_llPT6_ll16rocsparse_order_21rocsparse_index_base_.num_agpr, 0
	.set _ZN9rocsparse31csrmmnn_row_split_shared_kernelILj256ELj8EfliaafEEvNS_24const_host_device_scalarIT1_EES3_bbbT3_S4_llPKT2_PKS4_PKT4_PKT5_llPT6_ll16rocsparse_order_21rocsparse_index_base_.numbered_sgpr, 28
	.set _ZN9rocsparse31csrmmnn_row_split_shared_kernelILj256ELj8EfliaafEEvNS_24const_host_device_scalarIT1_EES3_bbbT3_S4_llPKT2_PKS4_PKT4_PKT5_llPT6_ll16rocsparse_order_21rocsparse_index_base_.num_named_barrier, 0
	.set _ZN9rocsparse31csrmmnn_row_split_shared_kernelILj256ELj8EfliaafEEvNS_24const_host_device_scalarIT1_EES3_bbbT3_S4_llPKT2_PKS4_PKT4_PKT5_llPT6_ll16rocsparse_order_21rocsparse_index_base_.private_seg_size, 0
	.set _ZN9rocsparse31csrmmnn_row_split_shared_kernelILj256ELj8EfliaafEEvNS_24const_host_device_scalarIT1_EES3_bbbT3_S4_llPKT2_PKS4_PKT4_PKT5_llPT6_ll16rocsparse_order_21rocsparse_index_base_.uses_vcc, 1
	.set _ZN9rocsparse31csrmmnn_row_split_shared_kernelILj256ELj8EfliaafEEvNS_24const_host_device_scalarIT1_EES3_bbbT3_S4_llPKT2_PKS4_PKT4_PKT5_llPT6_ll16rocsparse_order_21rocsparse_index_base_.uses_flat_scratch, 0
	.set _ZN9rocsparse31csrmmnn_row_split_shared_kernelILj256ELj8EfliaafEEvNS_24const_host_device_scalarIT1_EES3_bbbT3_S4_llPKT2_PKS4_PKT4_PKT5_llPT6_ll16rocsparse_order_21rocsparse_index_base_.has_dyn_sized_stack, 0
	.set _ZN9rocsparse31csrmmnn_row_split_shared_kernelILj256ELj8EfliaafEEvNS_24const_host_device_scalarIT1_EES3_bbbT3_S4_llPKT2_PKS4_PKT4_PKT5_llPT6_ll16rocsparse_order_21rocsparse_index_base_.has_recursion, 0
	.set _ZN9rocsparse31csrmmnn_row_split_shared_kernelILj256ELj8EfliaafEEvNS_24const_host_device_scalarIT1_EES3_bbbT3_S4_llPKT2_PKS4_PKT4_PKT5_llPT6_ll16rocsparse_order_21rocsparse_index_base_.has_indirect_call, 0
	.section	.AMDGPU.csdata,"",@progbits
; Kernel info:
; codeLenInByte = 1512
; TotalNumSgprs: 30
; NumVgprs: 37
; ScratchSize: 0
; MemoryBound: 0
; FloatMode: 240
; IeeeMode: 1
; LDSByteSize: 2048 bytes/workgroup (compile time only)
; SGPRBlocks: 0
; VGPRBlocks: 2
; NumSGPRsForWavesPerEU: 30
; NumVGPRsForWavesPerEU: 37
; NamedBarCnt: 0
; Occupancy: 16
; WaveLimiterHint : 1
; COMPUTE_PGM_RSRC2:SCRATCH_EN: 0
; COMPUTE_PGM_RSRC2:USER_SGPR: 2
; COMPUTE_PGM_RSRC2:TRAP_HANDLER: 0
; COMPUTE_PGM_RSRC2:TGID_X_EN: 1
; COMPUTE_PGM_RSRC2:TGID_Y_EN: 1
; COMPUTE_PGM_RSRC2:TGID_Z_EN: 1
; COMPUTE_PGM_RSRC2:TIDIG_COMP_CNT: 0
	.section	.text._ZN9rocsparse31csrmmnn_row_split_shared_kernelILj256ELj8EfllaafEEvNS_24const_host_device_scalarIT1_EES3_bbbT3_S4_llPKT2_PKS4_PKT4_PKT5_llPT6_ll16rocsparse_order_21rocsparse_index_base_,"axG",@progbits,_ZN9rocsparse31csrmmnn_row_split_shared_kernelILj256ELj8EfllaafEEvNS_24const_host_device_scalarIT1_EES3_bbbT3_S4_llPKT2_PKS4_PKT4_PKT5_llPT6_ll16rocsparse_order_21rocsparse_index_base_,comdat
	.protected	_ZN9rocsparse31csrmmnn_row_split_shared_kernelILj256ELj8EfllaafEEvNS_24const_host_device_scalarIT1_EES3_bbbT3_S4_llPKT2_PKS4_PKT4_PKT5_llPT6_ll16rocsparse_order_21rocsparse_index_base_ ; -- Begin function _ZN9rocsparse31csrmmnn_row_split_shared_kernelILj256ELj8EfllaafEEvNS_24const_host_device_scalarIT1_EES3_bbbT3_S4_llPKT2_PKS4_PKT4_PKT5_llPT6_ll16rocsparse_order_21rocsparse_index_base_
	.globl	_ZN9rocsparse31csrmmnn_row_split_shared_kernelILj256ELj8EfllaafEEvNS_24const_host_device_scalarIT1_EES3_bbbT3_S4_llPKT2_PKS4_PKT4_PKT5_llPT6_ll16rocsparse_order_21rocsparse_index_base_
	.p2align	8
	.type	_ZN9rocsparse31csrmmnn_row_split_shared_kernelILj256ELj8EfllaafEEvNS_24const_host_device_scalarIT1_EES3_bbbT3_S4_llPKT2_PKS4_PKT4_PKT5_llPT6_ll16rocsparse_order_21rocsparse_index_base_,@function
_ZN9rocsparse31csrmmnn_row_split_shared_kernelILj256ELj8EfllaafEEvNS_24const_host_device_scalarIT1_EES3_bbbT3_S4_llPKT2_PKS4_PKT4_PKT5_llPT6_ll16rocsparse_order_21rocsparse_index_base_: ; @_ZN9rocsparse31csrmmnn_row_split_shared_kernelILj256ELj8EfllaafEEvNS_24const_host_device_scalarIT1_EES3_bbbT3_S4_llPKT2_PKS4_PKT4_PKT5_llPT6_ll16rocsparse_order_21rocsparse_index_base_
; %bb.0:
	s_clause 0x1
	s_load_b32 s2, s[0:1], 0x10
	s_load_b128 s[28:31], s[0:1], 0x0
	s_wait_kmcnt 0x0
	s_bitcmp1_b32 s2, 0
	s_cselect_b32 s2, -1, 0
	s_delay_alu instid0(SALU_CYCLE_1)
	s_and_b32 vcc_lo, exec_lo, s2
	s_xor_b32 s2, s2, -1
	s_cbranch_vccnz .LBB20_2
; %bb.1:
	s_load_b32 s28, s[28:29], 0x0
.LBB20_2:
	s_and_not1_b32 vcc_lo, exec_lo, s2
	s_cbranch_vccnz .LBB20_4
; %bb.3:
	s_load_b32 s30, s[30:31], 0x0
.LBB20_4:
	s_wait_kmcnt 0x0
	s_cmp_eq_f32 s28, 0
	s_cselect_b32 s2, -1, 0
	s_cmp_eq_f32 s30, 1.0
	s_cselect_b32 s3, -1, 0
	s_delay_alu instid0(SALU_CYCLE_1) | instskip(NEXT) | instid1(SALU_CYCLE_1)
	s_and_b32 s2, s2, s3
	s_and_b32 vcc_lo, exec_lo, s2
	s_cbranch_vccnz .LBB20_21
; %bb.5:
	s_bfe_u32 s2, ttmp6, 0x4000c
	s_load_b512 s[4:19], s[0:1], 0x18
	s_add_co_i32 s2, s2, 1
	s_and_b32 s3, ttmp6, 15
	s_mul_i32 s20, ttmp9, s2
	s_getreg_b32 s2, hwreg(HW_REG_IB_STS2, 6, 4)
	s_add_co_i32 s3, s3, s20
	s_cmp_eq_u32 s2, 0
	v_mov_b32_e32 v7, 0
	s_cselect_b32 s3, ttmp9, s3
	s_delay_alu instid0(SALU_CYCLE_1) | instskip(SKIP_1) | instid1(VALU_DEP_1)
	v_lshl_or_b32 v1, s3, 8, v0
	s_mov_b32 s3, exec_lo
	v_lshrrev_b32_e32 v6, 3, v1
	s_wait_kmcnt 0x0
	s_delay_alu instid0(VALU_DEP_1)
	v_cmpx_gt_i64_e64 s[4:5], v[6:7]
	s_cbranch_execz .LBB20_21
; %bb.6:
	s_bfe_u32 s3, ttmp6, 0x40014
	s_bfe_u32 s5, ttmp6, 0x40010
	s_lshr_b32 s4, ttmp7, 16
	s_add_co_i32 s3, s3, 1
	s_and_b32 s20, ttmp7, 0xffff
	s_add_co_i32 s5, s5, 1
	s_mul_i32 s3, s4, s3
	s_bfe_u32 s21, ttmp6, 0x40008
	s_mul_i32 s5, s20, s5
	s_bfe_u32 s22, ttmp6, 0x40004
	s_add_co_i32 s21, s21, s3
	s_add_co_i32 s22, s22, s5
	s_cmp_eq_u32 s2, 0
	s_mov_b32 s3, 0
	s_cselect_b32 s2, s4, s21
	v_dual_lshlrev_b32 v1, 3, v6 :: v_dual_bitop2_b32 v10, 7, v0 bitop3:0x40
	s_mul_u64 s[4:5], s[8:9], s[2:3]
	s_cselect_b32 s29, s20, s22
	s_lshl_b64 s[4:5], s[4:5], 3
	v_dual_mov_b32 v9, v7 :: v_dual_mov_b32 v18, v7
	s_add_nc_u64 s[4:5], s[12:13], s[4:5]
	v_lshl_or_b32 v8, s29, 3, v10
	global_load_b128 v[2:5], v1, s[4:5]
	s_clause 0x1
	s_load_b256 s[20:27], s[0:1], 0x58
	s_load_b128 s[36:39], s[0:1], 0x78
	s_wait_xcnt 0x0
	s_mov_b32 s1, exec_lo
	s_wait_loadcnt 0x0
	v_cmpx_lt_i64_e64 v[2:3], v[4:5]
	s_cbranch_execz .LBB20_14
; %bb.7:
	s_wait_kmcnt 0x0
	v_mad_nc_u64_u32 v[12:13], s20, v8, s[18:19]
	v_mad_nc_u64_u32 v[14:15], s10, s2, v[2:3]
	v_dual_mov_b32 v11, 0 :: v_dual_lshrrev_b32 v16, 3, v0
	s_mov_b32 s4, s39
	s_mov_b32 s5, s3
	s_mul_u64 s[8:9], s[10:11], s[2:3]
	v_sub_nc_u64_e64 v[4:5], v[4:5], s[4:5]
	v_dual_mov_b32 v18, v11 :: v_dual_lshlrev_b32 v19, 6, v16
	v_lshl_or_b32 v20, v16, 5, 0x800
	v_mad_u32 v13, s21, v8, v13
	v_mad_u32 v15, s11, s2, v15
	s_add_nc_u64 s[8:9], s[16:17], s[8:9]
	v_sub_nc_u64_e64 v[2:3], v[2:3], s[4:5]
	v_lshl_or_b32 v21, v10, 3, v19
	v_lshl_or_b32 v22, v10, 2, v20
	v_cmp_gt_i64_e32 vcc_lo, s[6:7], v[8:9]
	v_mad_nc_u64_u32 v[0:1], s22, s2, v[12:13]
	v_add_nc_u64_e32 v[12:13], v[14:15], v[10:11]
	s_delay_alu instid0(VALU_DEP_1) | instskip(SKIP_2) | instid1(VALU_DEP_4)
	v_sub_nc_u64_e64 v[14:15], v[12:13], s[4:5]
	v_add_nc_u64_e32 v[12:13], s[8:9], v[10:11]
	s_mov_b32 s8, s3
	v_mad_u32 v1, s23, s2, v1
	s_delay_alu instid0(VALU_DEP_3)
	v_lshl_add_u64 v[14:15], v[14:15], 3, s[14:15]
	s_branch .LBB20_9
.LBB20_8:                               ;   in Loop: Header=BB20_9 Depth=1
	s_or_b32 exec_lo, exec_lo, s0
	v_add_nc_u64_e32 v[2:3], 8, v[2:3]
	v_add_nc_u64_e32 v[14:15], 64, v[14:15]
	s_delay_alu instid0(VALU_DEP_2) | instskip(SKIP_1) | instid1(SALU_CYCLE_1)
	v_cmp_ge_i64_e64 s0, v[2:3], v[4:5]
	s_or_b32 s8, s0, s8
	s_and_not1_b32 exec_lo, exec_lo, s8
	s_cbranch_execz .LBB20_13
.LBB20_9:                               ; =>This Inner Loop Header: Depth=1
	v_add_nc_u64_e32 v[16:17], v[10:11], v[2:3]
	v_mov_b32_e32 v23, 0
	s_barrier_signal -1
	s_barrier_wait -1
	s_delay_alu instid0(VALU_DEP_2)
	v_cmp_lt_i64_e64 s0, v[16:17], v[4:5]
	v_mov_b64_e32 v[16:17], 0
	s_and_saveexec_b32 s9, s0
	s_cbranch_execz .LBB20_11
; %bb.10:                               ;   in Loop: Header=BB20_9 Depth=1
	v_add_nc_u64_e32 v[16:17], v[12:13], v[2:3]
	global_load_b64 v[24:25], v[14:15], off
	global_load_i8 v23, v[16:17], off
	s_wait_loadcnt 0x1
	s_wait_xcnt 0x0
	v_sub_nc_u64_e64 v[16:17], v[24:25], s[4:5]
	s_wait_loadcnt 0x0
	v_cvt_f32_i32_e32 v23, v23
.LBB20_11:                              ;   in Loop: Header=BB20_9 Depth=1
	s_or_b32 exec_lo, exec_lo, s9
	ds_store_b64 v21, v[16:17]
	ds_store_b32 v22, v23
	s_wait_dscnt 0x0
	s_barrier_signal -1
	s_barrier_wait -1
	s_and_saveexec_b32 s0, vcc_lo
	s_cbranch_execz .LBB20_8
; %bb.12:                               ;   in Loop: Header=BB20_9 Depth=1
	ds_load_b128 v[24:27], v19
	ds_load_b128 v[28:31], v19 offset:16
	ds_load_b128 v[32:35], v19 offset:32
	s_wait_dscnt 0x2
	v_add_nc_u64_e32 v[16:17], v[0:1], v[24:25]
	v_add_nc_u64_e32 v[36:37], v[0:1], v[26:27]
	ds_load_b128 v[24:27], v19 offset:48
	s_clause 0x1
	global_load_i8 v23, v[16:17], off
	global_load_i8 v36, v[36:37], off
	s_wait_dscnt 0x2
	s_wait_xcnt 0x1
	v_add_nc_u64_e32 v[16:17], v[0:1], v[28:29]
	v_add_nc_u64_e32 v[28:29], v[0:1], v[30:31]
	global_load_i8 v37, v[16:17], off
	s_wait_dscnt 0x1
	s_wait_xcnt 0x0
	v_add_nc_u64_e32 v[16:17], v[0:1], v[32:33]
	s_clause 0x1
	global_load_i8 v32, v[28:29], off
	global_load_i8 v33, v[16:17], off
	s_wait_xcnt 0x1
	v_add_nc_u64_e32 v[28:29], v[0:1], v[34:35]
	s_wait_dscnt 0x0
	s_wait_xcnt 0x0
	v_add_nc_u64_e32 v[16:17], v[0:1], v[24:25]
	v_add_nc_u64_e32 v[24:25], v[0:1], v[26:27]
	s_clause 0x2
	global_load_i8 v34, v[28:29], off
	global_load_i8 v35, v[16:17], off
	;; [unrolled: 1-line block ×3, first 2 shown]
	s_wait_xcnt 0x0
	ds_load_b128 v[24:27], v20
	ds_load_b128 v[28:31], v20 offset:16
	s_wait_loadcnt 0x7
	v_cvt_f32_i32_e32 v16, v23
	s_wait_loadcnt 0x6
	v_cvt_f32_i32_e32 v17, v36
	s_wait_dscnt 0x1
	s_delay_alu instid0(VALU_DEP_2) | instskip(SKIP_2) | instid1(VALU_DEP_2)
	v_fmac_f32_e32 v18, v24, v16
	s_wait_loadcnt 0x5
	v_cvt_f32_i32_e32 v16, v37
	v_fmac_f32_e32 v18, v25, v17
	s_wait_loadcnt 0x4
	v_cvt_f32_i32_e32 v17, v32
	s_delay_alu instid0(VALU_DEP_2) | instskip(SKIP_2) | instid1(VALU_DEP_2)
	v_fmac_f32_e32 v18, v26, v16
	s_wait_loadcnt 0x3
	v_cvt_f32_i32_e32 v16, v33
	v_fmac_f32_e32 v18, v27, v17
	s_wait_loadcnt 0x2
	v_cvt_f32_i32_e32 v17, v34
	s_wait_dscnt 0x0
	s_delay_alu instid0(VALU_DEP_2) | instskip(SKIP_2) | instid1(VALU_DEP_2)
	v_fmac_f32_e32 v18, v28, v16
	s_wait_loadcnt 0x1
	v_cvt_f32_i32_e32 v16, v35
	v_fmac_f32_e32 v18, v29, v17
	s_delay_alu instid0(VALU_DEP_1) | instskip(SKIP_2) | instid1(VALU_DEP_1)
	v_fmac_f32_e32 v18, v30, v16
	s_wait_loadcnt 0x0
	v_cvt_f32_i32_e32 v16, v38
	v_fmac_f32_e32 v18, v31, v16
	s_branch .LBB20_8
.LBB20_13:
	s_or_b32 exec_lo, exec_lo, s8
.LBB20_14:
	s_delay_alu instid0(SALU_CYCLE_1)
	s_or_b32 exec_lo, exec_lo, s1
	v_cmp_gt_i64_e32 vcc_lo, s[6:7], v[8:9]
	s_and_b32 exec_lo, exec_lo, vcc_lo
	s_cbranch_execz .LBB20_21
; %bb.15:
	s_wait_kmcnt 0x0
	s_cmp_lg_u32 s38, 1
	v_mul_f32_e32 v0, s28, v18
	s_cselect_b32 s4, -1, 0
	s_cmp_neq_f32 s30, 0
	s_mul_u64 s[0:1], s[36:37], s[2:3]
	s_cbranch_scc0 .LBB20_22
; %bb.16:
	s_and_b32 vcc_lo, exec_lo, s4
	s_mov_b32 s2, -1
	s_cbranch_vccz .LBB20_18
; %bb.17:
	v_mul_u64_e32 v[2:3], s[26:27], v[6:7]
	s_mov_b32 s2, 0
	s_delay_alu instid0(VALU_DEP_1) | instskip(NEXT) | instid1(VALU_DEP_1)
	v_lshl_add_u64 v[2:3], v[2:3], 2, s[24:25]
	v_lshl_add_u64 v[2:3], v[8:9], 2, v[2:3]
	s_delay_alu instid0(VALU_DEP_1)
	v_lshl_add_u64 v[2:3], s[0:1], 2, v[2:3]
	global_load_b32 v1, v[2:3], off
	s_wait_loadcnt 0x0
	v_fma_f32 v1, s30, v1, v0
	global_store_b32 v[2:3], v1, off
.LBB20_18:
	s_and_not1_b32 vcc_lo, exec_lo, s2
	s_cbranch_vccnz .LBB20_20
; %bb.19:
	s_wait_xcnt 0x0
	v_mul_u64_e32 v[2:3], s[26:27], v[8:9]
	v_dual_mov_b32 v5, 0 :: v_dual_lshlrev_b32 v4, 2, v6
	s_delay_alu instid0(VALU_DEP_2) | instskip(NEXT) | instid1(VALU_DEP_1)
	v_lshl_add_u64 v[2:3], v[2:3], 2, s[24:25]
	v_add_nc_u64_e32 v[2:3], v[2:3], v[4:5]
	s_delay_alu instid0(VALU_DEP_1)
	v_lshl_add_u64 v[2:3], s[0:1], 2, v[2:3]
	global_load_b32 v1, v[2:3], off
	s_wait_loadcnt 0x0
	v_fma_f32 v1, s30, v1, v0
	global_store_b32 v[2:3], v1, off
.LBB20_20:
	s_cbranch_execz .LBB20_23
.LBB20_21:
	s_endpgm
.LBB20_22:
.LBB20_23:
	s_and_b32 vcc_lo, exec_lo, s4
	s_mov_b32 s2, -1
	s_cbranch_vccz .LBB20_25
; %bb.24:
	s_wait_xcnt 0x0
	v_mul_u64_e32 v[2:3], s[26:27], v[6:7]
	s_mov_b32 s2, 0
	s_delay_alu instid0(VALU_DEP_1) | instskip(NEXT) | instid1(VALU_DEP_1)
	v_lshl_add_u64 v[2:3], v[2:3], 2, s[24:25]
	v_lshl_add_u64 v[2:3], v[8:9], 2, v[2:3]
	s_delay_alu instid0(VALU_DEP_1)
	v_lshl_add_u64 v[2:3], s[0:1], 2, v[2:3]
	global_store_b32 v[2:3], v0, off
.LBB20_25:
	s_and_not1_b32 vcc_lo, exec_lo, s2
	s_cbranch_vccnz .LBB20_21
; %bb.26:
	s_wait_xcnt 0x0
	v_mul_u64_e32 v[2:3], s[26:27], v[8:9]
	v_dual_mov_b32 v5, 0 :: v_dual_lshlrev_b32 v4, 2, v6
	s_delay_alu instid0(VALU_DEP_2) | instskip(NEXT) | instid1(VALU_DEP_1)
	v_lshl_add_u64 v[2:3], v[2:3], 2, s[24:25]
	v_add_nc_u64_e32 v[2:3], v[2:3], v[4:5]
	s_delay_alu instid0(VALU_DEP_1)
	v_lshl_add_u64 v[2:3], s[0:1], 2, v[2:3]
	global_store_b32 v[2:3], v0, off
	s_endpgm
	.section	.rodata,"a",@progbits
	.p2align	6, 0x0
	.amdhsa_kernel _ZN9rocsparse31csrmmnn_row_split_shared_kernelILj256ELj8EfllaafEEvNS_24const_host_device_scalarIT1_EES3_bbbT3_S4_llPKT2_PKS4_PKT4_PKT5_llPT6_ll16rocsparse_order_21rocsparse_index_base_
		.amdhsa_group_segment_fixed_size 3072
		.amdhsa_private_segment_fixed_size 0
		.amdhsa_kernarg_size 136
		.amdhsa_user_sgpr_count 2
		.amdhsa_user_sgpr_dispatch_ptr 0
		.amdhsa_user_sgpr_queue_ptr 0
		.amdhsa_user_sgpr_kernarg_segment_ptr 1
		.amdhsa_user_sgpr_dispatch_id 0
		.amdhsa_user_sgpr_kernarg_preload_length 0
		.amdhsa_user_sgpr_kernarg_preload_offset 0
		.amdhsa_user_sgpr_private_segment_size 0
		.amdhsa_wavefront_size32 1
		.amdhsa_uses_dynamic_stack 0
		.amdhsa_enable_private_segment 0
		.amdhsa_system_sgpr_workgroup_id_x 1
		.amdhsa_system_sgpr_workgroup_id_y 1
		.amdhsa_system_sgpr_workgroup_id_z 1
		.amdhsa_system_sgpr_workgroup_info 0
		.amdhsa_system_vgpr_workitem_id 0
		.amdhsa_next_free_vgpr 39
		.amdhsa_next_free_sgpr 40
		.amdhsa_named_barrier_count 0
		.amdhsa_reserve_vcc 1
		.amdhsa_float_round_mode_32 0
		.amdhsa_float_round_mode_16_64 0
		.amdhsa_float_denorm_mode_32 3
		.amdhsa_float_denorm_mode_16_64 3
		.amdhsa_fp16_overflow 0
		.amdhsa_memory_ordered 1
		.amdhsa_forward_progress 1
		.amdhsa_inst_pref_size 12
		.amdhsa_round_robin_scheduling 0
		.amdhsa_exception_fp_ieee_invalid_op 0
		.amdhsa_exception_fp_denorm_src 0
		.amdhsa_exception_fp_ieee_div_zero 0
		.amdhsa_exception_fp_ieee_overflow 0
		.amdhsa_exception_fp_ieee_underflow 0
		.amdhsa_exception_fp_ieee_inexact 0
		.amdhsa_exception_int_div_zero 0
	.end_amdhsa_kernel
	.section	.text._ZN9rocsparse31csrmmnn_row_split_shared_kernelILj256ELj8EfllaafEEvNS_24const_host_device_scalarIT1_EES3_bbbT3_S4_llPKT2_PKS4_PKT4_PKT5_llPT6_ll16rocsparse_order_21rocsparse_index_base_,"axG",@progbits,_ZN9rocsparse31csrmmnn_row_split_shared_kernelILj256ELj8EfllaafEEvNS_24const_host_device_scalarIT1_EES3_bbbT3_S4_llPKT2_PKS4_PKT4_PKT5_llPT6_ll16rocsparse_order_21rocsparse_index_base_,comdat
.Lfunc_end20:
	.size	_ZN9rocsparse31csrmmnn_row_split_shared_kernelILj256ELj8EfllaafEEvNS_24const_host_device_scalarIT1_EES3_bbbT3_S4_llPKT2_PKS4_PKT4_PKT5_llPT6_ll16rocsparse_order_21rocsparse_index_base_, .Lfunc_end20-_ZN9rocsparse31csrmmnn_row_split_shared_kernelILj256ELj8EfllaafEEvNS_24const_host_device_scalarIT1_EES3_bbbT3_S4_llPKT2_PKS4_PKT4_PKT5_llPT6_ll16rocsparse_order_21rocsparse_index_base_
                                        ; -- End function
	.set _ZN9rocsparse31csrmmnn_row_split_shared_kernelILj256ELj8EfllaafEEvNS_24const_host_device_scalarIT1_EES3_bbbT3_S4_llPKT2_PKS4_PKT4_PKT5_llPT6_ll16rocsparse_order_21rocsparse_index_base_.num_vgpr, 39
	.set _ZN9rocsparse31csrmmnn_row_split_shared_kernelILj256ELj8EfllaafEEvNS_24const_host_device_scalarIT1_EES3_bbbT3_S4_llPKT2_PKS4_PKT4_PKT5_llPT6_ll16rocsparse_order_21rocsparse_index_base_.num_agpr, 0
	.set _ZN9rocsparse31csrmmnn_row_split_shared_kernelILj256ELj8EfllaafEEvNS_24const_host_device_scalarIT1_EES3_bbbT3_S4_llPKT2_PKS4_PKT4_PKT5_llPT6_ll16rocsparse_order_21rocsparse_index_base_.numbered_sgpr, 40
	.set _ZN9rocsparse31csrmmnn_row_split_shared_kernelILj256ELj8EfllaafEEvNS_24const_host_device_scalarIT1_EES3_bbbT3_S4_llPKT2_PKS4_PKT4_PKT5_llPT6_ll16rocsparse_order_21rocsparse_index_base_.num_named_barrier, 0
	.set _ZN9rocsparse31csrmmnn_row_split_shared_kernelILj256ELj8EfllaafEEvNS_24const_host_device_scalarIT1_EES3_bbbT3_S4_llPKT2_PKS4_PKT4_PKT5_llPT6_ll16rocsparse_order_21rocsparse_index_base_.private_seg_size, 0
	.set _ZN9rocsparse31csrmmnn_row_split_shared_kernelILj256ELj8EfllaafEEvNS_24const_host_device_scalarIT1_EES3_bbbT3_S4_llPKT2_PKS4_PKT4_PKT5_llPT6_ll16rocsparse_order_21rocsparse_index_base_.uses_vcc, 1
	.set _ZN9rocsparse31csrmmnn_row_split_shared_kernelILj256ELj8EfllaafEEvNS_24const_host_device_scalarIT1_EES3_bbbT3_S4_llPKT2_PKS4_PKT4_PKT5_llPT6_ll16rocsparse_order_21rocsparse_index_base_.uses_flat_scratch, 0
	.set _ZN9rocsparse31csrmmnn_row_split_shared_kernelILj256ELj8EfllaafEEvNS_24const_host_device_scalarIT1_EES3_bbbT3_S4_llPKT2_PKS4_PKT4_PKT5_llPT6_ll16rocsparse_order_21rocsparse_index_base_.has_dyn_sized_stack, 0
	.set _ZN9rocsparse31csrmmnn_row_split_shared_kernelILj256ELj8EfllaafEEvNS_24const_host_device_scalarIT1_EES3_bbbT3_S4_llPKT2_PKS4_PKT4_PKT5_llPT6_ll16rocsparse_order_21rocsparse_index_base_.has_recursion, 0
	.set _ZN9rocsparse31csrmmnn_row_split_shared_kernelILj256ELj8EfllaafEEvNS_24const_host_device_scalarIT1_EES3_bbbT3_S4_llPKT2_PKS4_PKT4_PKT5_llPT6_ll16rocsparse_order_21rocsparse_index_base_.has_indirect_call, 0
	.section	.AMDGPU.csdata,"",@progbits
; Kernel info:
; codeLenInByte = 1436
; TotalNumSgprs: 42
; NumVgprs: 39
; ScratchSize: 0
; MemoryBound: 0
; FloatMode: 240
; IeeeMode: 1
; LDSByteSize: 3072 bytes/workgroup (compile time only)
; SGPRBlocks: 0
; VGPRBlocks: 2
; NumSGPRsForWavesPerEU: 42
; NumVGPRsForWavesPerEU: 39
; NamedBarCnt: 0
; Occupancy: 16
; WaveLimiterHint : 0
; COMPUTE_PGM_RSRC2:SCRATCH_EN: 0
; COMPUTE_PGM_RSRC2:USER_SGPR: 2
; COMPUTE_PGM_RSRC2:TRAP_HANDLER: 0
; COMPUTE_PGM_RSRC2:TGID_X_EN: 1
; COMPUTE_PGM_RSRC2:TGID_Y_EN: 1
; COMPUTE_PGM_RSRC2:TGID_Z_EN: 1
; COMPUTE_PGM_RSRC2:TIDIG_COMP_CNT: 0
	.section	.AMDGPU.gpr_maximums,"",@progbits
	.set amdgpu.max_num_vgpr, 0
	.set amdgpu.max_num_agpr, 0
	.set amdgpu.max_num_sgpr, 0
	.section	.AMDGPU.csdata,"",@progbits
	.type	__hip_cuid_bf3737e232e12149,@object ; @__hip_cuid_bf3737e232e12149
	.section	.bss,"aw",@nobits
	.globl	__hip_cuid_bf3737e232e12149
__hip_cuid_bf3737e232e12149:
	.byte	0                               ; 0x0
	.size	__hip_cuid_bf3737e232e12149, 1

	.ident	"AMD clang version 22.0.0git (https://github.com/RadeonOpenCompute/llvm-project roc-7.2.4 26084 f58b06dce1f9c15707c5f808fd002e18c2accf7e)"
	.section	".note.GNU-stack","",@progbits
	.addrsig
	.addrsig_sym __hip_cuid_bf3737e232e12149
	.amdgpu_metadata
---
amdhsa.kernels:
  - .args:
      - .offset:         0
        .size:           8
        .value_kind:     by_value
      - .offset:         8
        .size:           8
        .value_kind:     by_value
      - .offset:         16
        .size:           1
        .value_kind:     by_value
      - .offset:         17
        .size:           1
        .value_kind:     by_value
      - .offset:         18
        .size:           1
        .value_kind:     by_value
      - .offset:         20
        .size:           4
        .value_kind:     by_value
      - .offset:         24
        .size:           4
        .value_kind:     by_value
      - .offset:         32
        .size:           8
        .value_kind:     by_value
      - .offset:         40
        .size:           8
        .value_kind:     by_value
      - .address_space:  global
        .offset:         48
        .size:           8
        .value_kind:     global_buffer
      - .address_space:  global
        .offset:         56
        .size:           8
        .value_kind:     global_buffer
      - .address_space:  global
        .offset:         64
        .size:           8
        .value_kind:     global_buffer
      - .address_space:  global
        .offset:         72
        .size:           8
        .value_kind:     global_buffer
      - .offset:         80
        .size:           8
        .value_kind:     by_value
      - .offset:         88
        .size:           8
        .value_kind:     by_value
      - .address_space:  global
        .offset:         96
        .size:           8
        .value_kind:     global_buffer
      - .offset:         104
        .size:           8
        .value_kind:     by_value
      - .offset:         112
        .size:           8
        .value_kind:     by_value
      - .offset:         120
        .size:           4
        .value_kind:     by_value
      - .offset:         124
        .size:           4
        .value_kind:     by_value
    .group_segment_fixed_size: 2048
    .kernarg_segment_align: 8
    .kernarg_segment_size: 128
    .language:       OpenCL C
    .language_version:
      - 2
      - 0
    .max_flat_workgroup_size: 256
    .name:           _ZN9rocsparse31csrmmnn_row_split_shared_kernelILj256ELj8EfiifffEEvNS_24const_host_device_scalarIT1_EES3_bbbT3_S4_llPKT2_PKS4_PKT4_PKT5_llPT6_ll16rocsparse_order_21rocsparse_index_base_
    .private_segment_fixed_size: 0
    .sgpr_count:     30
    .sgpr_spill_count: 0
    .symbol:         _ZN9rocsparse31csrmmnn_row_split_shared_kernelILj256ELj8EfiifffEEvNS_24const_host_device_scalarIT1_EES3_bbbT3_S4_llPKT2_PKS4_PKT4_PKT5_llPT6_ll16rocsparse_order_21rocsparse_index_base_.kd
    .uniform_work_group_size: 1
    .uses_dynamic_stack: false
    .vgpr_count:     32
    .vgpr_spill_count: 0
    .wavefront_size: 32
  - .args:
      - .offset:         0
        .size:           8
        .value_kind:     by_value
      - .offset:         8
        .size:           8
        .value_kind:     by_value
      - .offset:         16
        .size:           1
        .value_kind:     by_value
      - .offset:         17
        .size:           1
        .value_kind:     by_value
      - .offset:         18
        .size:           1
        .value_kind:     by_value
      - .offset:         20
        .size:           4
        .value_kind:     by_value
      - .offset:         24
        .size:           4
        .value_kind:     by_value
      - .offset:         32
        .size:           8
        .value_kind:     by_value
      - .offset:         40
        .size:           8
        .value_kind:     by_value
      - .address_space:  global
        .offset:         48
        .size:           8
        .value_kind:     global_buffer
      - .address_space:  global
        .offset:         56
        .size:           8
        .value_kind:     global_buffer
      - .address_space:  global
        .offset:         64
        .size:           8
        .value_kind:     global_buffer
      - .address_space:  global
        .offset:         72
        .size:           8
        .value_kind:     global_buffer
      - .offset:         80
        .size:           8
        .value_kind:     by_value
      - .offset:         88
        .size:           8
        .value_kind:     by_value
      - .address_space:  global
        .offset:         96
        .size:           8
        .value_kind:     global_buffer
      - .offset:         104
        .size:           8
        .value_kind:     by_value
      - .offset:         112
        .size:           8
        .value_kind:     by_value
      - .offset:         120
        .size:           4
        .value_kind:     by_value
      - .offset:         124
        .size:           4
        .value_kind:     by_value
    .group_segment_fixed_size: 2048
    .kernarg_segment_align: 8
    .kernarg_segment_size: 128
    .language:       OpenCL C
    .language_version:
      - 2
      - 0
    .max_flat_workgroup_size: 256
    .name:           _ZN9rocsparse31csrmmnn_row_split_shared_kernelILj256ELj8EflifffEEvNS_24const_host_device_scalarIT1_EES3_bbbT3_S4_llPKT2_PKS4_PKT4_PKT5_llPT6_ll16rocsparse_order_21rocsparse_index_base_
    .private_segment_fixed_size: 0
    .sgpr_count:     30
    .sgpr_spill_count: 0
    .symbol:         _ZN9rocsparse31csrmmnn_row_split_shared_kernelILj256ELj8EflifffEEvNS_24const_host_device_scalarIT1_EES3_bbbT3_S4_llPKT2_PKS4_PKT4_PKT5_llPT6_ll16rocsparse_order_21rocsparse_index_base_.kd
    .uniform_work_group_size: 1
    .uses_dynamic_stack: false
    .vgpr_count:     37
    .vgpr_spill_count: 0
    .wavefront_size: 32
  - .args:
      - .offset:         0
        .size:           8
        .value_kind:     by_value
      - .offset:         8
        .size:           8
        .value_kind:     by_value
      - .offset:         16
        .size:           1
        .value_kind:     by_value
      - .offset:         17
        .size:           1
        .value_kind:     by_value
      - .offset:         18
        .size:           1
        .value_kind:     by_value
      - .offset:         24
        .size:           8
        .value_kind:     by_value
      - .offset:         32
        .size:           8
        .value_kind:     by_value
      - .offset:         40
        .size:           8
        .value_kind:     by_value
      - .offset:         48
        .size:           8
        .value_kind:     by_value
      - .address_space:  global
        .offset:         56
        .size:           8
        .value_kind:     global_buffer
      - .address_space:  global
        .offset:         64
        .size:           8
        .value_kind:     global_buffer
      - .address_space:  global
        .offset:         72
        .size:           8
        .value_kind:     global_buffer
      - .address_space:  global
        .offset:         80
        .size:           8
        .value_kind:     global_buffer
      - .offset:         88
        .size:           8
        .value_kind:     by_value
      - .offset:         96
        .size:           8
        .value_kind:     by_value
      - .address_space:  global
        .offset:         104
        .size:           8
        .value_kind:     global_buffer
      - .offset:         112
        .size:           8
        .value_kind:     by_value
      - .offset:         120
        .size:           8
        .value_kind:     by_value
      - .offset:         128
        .size:           4
        .value_kind:     by_value
      - .offset:         132
        .size:           4
        .value_kind:     by_value
    .group_segment_fixed_size: 3072
    .kernarg_segment_align: 8
    .kernarg_segment_size: 136
    .language:       OpenCL C
    .language_version:
      - 2
      - 0
    .max_flat_workgroup_size: 256
    .name:           _ZN9rocsparse31csrmmnn_row_split_shared_kernelILj256ELj8EfllfffEEvNS_24const_host_device_scalarIT1_EES3_bbbT3_S4_llPKT2_PKS4_PKT4_PKT5_llPT6_ll16rocsparse_order_21rocsparse_index_base_
    .private_segment_fixed_size: 0
    .sgpr_count:     42
    .sgpr_spill_count: 0
    .symbol:         _ZN9rocsparse31csrmmnn_row_split_shared_kernelILj256ELj8EfllfffEEvNS_24const_host_device_scalarIT1_EES3_bbbT3_S4_llPKT2_PKS4_PKT4_PKT5_llPT6_ll16rocsparse_order_21rocsparse_index_base_.kd
    .uniform_work_group_size: 1
    .uses_dynamic_stack: false
    .vgpr_count:     39
    .vgpr_spill_count: 0
    .wavefront_size: 32
  - .args:
      - .offset:         0
        .size:           8
        .value_kind:     by_value
      - .offset:         8
        .size:           8
        .value_kind:     by_value
      - .offset:         16
        .size:           1
        .value_kind:     by_value
      - .offset:         17
        .size:           1
        .value_kind:     by_value
      - .offset:         18
        .size:           1
        .value_kind:     by_value
      - .offset:         20
        .size:           4
        .value_kind:     by_value
      - .offset:         24
        .size:           4
        .value_kind:     by_value
      - .offset:         32
        .size:           8
        .value_kind:     by_value
      - .offset:         40
        .size:           8
        .value_kind:     by_value
      - .address_space:  global
        .offset:         48
        .size:           8
        .value_kind:     global_buffer
      - .address_space:  global
        .offset:         56
        .size:           8
        .value_kind:     global_buffer
      - .address_space:  global
        .offset:         64
        .size:           8
        .value_kind:     global_buffer
      - .address_space:  global
        .offset:         72
        .size:           8
        .value_kind:     global_buffer
      - .offset:         80
        .size:           8
        .value_kind:     by_value
      - .offset:         88
        .size:           8
        .value_kind:     by_value
      - .address_space:  global
        .offset:         96
        .size:           8
        .value_kind:     global_buffer
      - .offset:         104
        .size:           8
        .value_kind:     by_value
      - .offset:         112
        .size:           8
        .value_kind:     by_value
      - .offset:         120
        .size:           4
        .value_kind:     by_value
      - .offset:         124
        .size:           4
        .value_kind:     by_value
    .group_segment_fixed_size: 3072
    .kernarg_segment_align: 8
    .kernarg_segment_size: 128
    .language:       OpenCL C
    .language_version:
      - 2
      - 0
    .max_flat_workgroup_size: 256
    .name:           _ZN9rocsparse31csrmmnn_row_split_shared_kernelILj256ELj8EdiidddEEvNS_24const_host_device_scalarIT1_EES3_bbbT3_S4_llPKT2_PKS4_PKT4_PKT5_llPT6_ll16rocsparse_order_21rocsparse_index_base_
    .private_segment_fixed_size: 0
    .sgpr_count:     29
    .sgpr_spill_count: 0
    .symbol:         _ZN9rocsparse31csrmmnn_row_split_shared_kernelILj256ELj8EdiidddEEvNS_24const_host_device_scalarIT1_EES3_bbbT3_S4_llPKT2_PKS4_PKT4_PKT5_llPT6_ll16rocsparse_order_21rocsparse_index_base_.kd
    .uniform_work_group_size: 1
    .uses_dynamic_stack: false
    .vgpr_count:     44
    .vgpr_spill_count: 0
    .wavefront_size: 32
  - .args:
      - .offset:         0
        .size:           8
        .value_kind:     by_value
      - .offset:         8
        .size:           8
        .value_kind:     by_value
      - .offset:         16
        .size:           1
        .value_kind:     by_value
      - .offset:         17
        .size:           1
        .value_kind:     by_value
      - .offset:         18
        .size:           1
        .value_kind:     by_value
      - .offset:         20
        .size:           4
        .value_kind:     by_value
      - .offset:         24
        .size:           4
        .value_kind:     by_value
      - .offset:         32
        .size:           8
        .value_kind:     by_value
      - .offset:         40
        .size:           8
        .value_kind:     by_value
      - .address_space:  global
        .offset:         48
        .size:           8
        .value_kind:     global_buffer
      - .address_space:  global
        .offset:         56
        .size:           8
        .value_kind:     global_buffer
      - .address_space:  global
        .offset:         64
        .size:           8
        .value_kind:     global_buffer
      - .address_space:  global
        .offset:         72
        .size:           8
        .value_kind:     global_buffer
      - .offset:         80
        .size:           8
        .value_kind:     by_value
      - .offset:         88
        .size:           8
        .value_kind:     by_value
      - .address_space:  global
        .offset:         96
        .size:           8
        .value_kind:     global_buffer
      - .offset:         104
        .size:           8
        .value_kind:     by_value
      - .offset:         112
        .size:           8
        .value_kind:     by_value
      - .offset:         120
        .size:           4
        .value_kind:     by_value
      - .offset:         124
        .size:           4
        .value_kind:     by_value
    .group_segment_fixed_size: 3072
    .kernarg_segment_align: 8
    .kernarg_segment_size: 128
    .language:       OpenCL C
    .language_version:
      - 2
      - 0
    .max_flat_workgroup_size: 256
    .name:           _ZN9rocsparse31csrmmnn_row_split_shared_kernelILj256ELj8EdlidddEEvNS_24const_host_device_scalarIT1_EES3_bbbT3_S4_llPKT2_PKS4_PKT4_PKT5_llPT6_ll16rocsparse_order_21rocsparse_index_base_
    .private_segment_fixed_size: 0
    .sgpr_count:     29
    .sgpr_spill_count: 0
    .symbol:         _ZN9rocsparse31csrmmnn_row_split_shared_kernelILj256ELj8EdlidddEEvNS_24const_host_device_scalarIT1_EES3_bbbT3_S4_llPKT2_PKS4_PKT4_PKT5_llPT6_ll16rocsparse_order_21rocsparse_index_base_.kd
    .uniform_work_group_size: 1
    .uses_dynamic_stack: false
    .vgpr_count:     50
    .vgpr_spill_count: 0
    .wavefront_size: 32
  - .args:
      - .offset:         0
        .size:           8
        .value_kind:     by_value
      - .offset:         8
        .size:           8
        .value_kind:     by_value
      - .offset:         16
        .size:           1
        .value_kind:     by_value
      - .offset:         17
        .size:           1
        .value_kind:     by_value
      - .offset:         18
        .size:           1
        .value_kind:     by_value
      - .offset:         24
        .size:           8
        .value_kind:     by_value
      - .offset:         32
        .size:           8
        .value_kind:     by_value
      - .offset:         40
        .size:           8
        .value_kind:     by_value
      - .offset:         48
        .size:           8
        .value_kind:     by_value
      - .address_space:  global
        .offset:         56
        .size:           8
        .value_kind:     global_buffer
      - .address_space:  global
        .offset:         64
        .size:           8
        .value_kind:     global_buffer
      - .address_space:  global
        .offset:         72
        .size:           8
        .value_kind:     global_buffer
      - .address_space:  global
        .offset:         80
        .size:           8
        .value_kind:     global_buffer
      - .offset:         88
        .size:           8
        .value_kind:     by_value
      - .offset:         96
        .size:           8
        .value_kind:     by_value
      - .address_space:  global
        .offset:         104
        .size:           8
        .value_kind:     global_buffer
      - .offset:         112
        .size:           8
        .value_kind:     by_value
      - .offset:         120
        .size:           8
        .value_kind:     by_value
      - .offset:         128
        .size:           4
        .value_kind:     by_value
      - .offset:         132
        .size:           4
        .value_kind:     by_value
    .group_segment_fixed_size: 4096
    .kernarg_segment_align: 8
    .kernarg_segment_size: 136
    .language:       OpenCL C
    .language_version:
      - 2
      - 0
    .max_flat_workgroup_size: 256
    .name:           _ZN9rocsparse31csrmmnn_row_split_shared_kernelILj256ELj8EdlldddEEvNS_24const_host_device_scalarIT1_EES3_bbbT3_S4_llPKT2_PKS4_PKT4_PKT5_llPT6_ll16rocsparse_order_21rocsparse_index_base_
    .private_segment_fixed_size: 0
    .sgpr_count:     36
    .sgpr_spill_count: 0
    .symbol:         _ZN9rocsparse31csrmmnn_row_split_shared_kernelILj256ELj8EdlldddEEvNS_24const_host_device_scalarIT1_EES3_bbbT3_S4_llPKT2_PKS4_PKT4_PKT5_llPT6_ll16rocsparse_order_21rocsparse_index_base_.kd
    .uniform_work_group_size: 1
    .uses_dynamic_stack: false
    .vgpr_count:     52
    .vgpr_spill_count: 0
    .wavefront_size: 32
  - .args:
      - .offset:         0
        .size:           8
        .value_kind:     by_value
      - .offset:         8
        .size:           8
        .value_kind:     by_value
      - .offset:         16
        .size:           1
        .value_kind:     by_value
      - .offset:         17
        .size:           1
        .value_kind:     by_value
      - .offset:         18
        .size:           1
        .value_kind:     by_value
      - .offset:         20
        .size:           4
        .value_kind:     by_value
      - .offset:         24
        .size:           4
        .value_kind:     by_value
      - .offset:         32
        .size:           8
        .value_kind:     by_value
      - .offset:         40
        .size:           8
        .value_kind:     by_value
      - .address_space:  global
        .offset:         48
        .size:           8
        .value_kind:     global_buffer
      - .address_space:  global
        .offset:         56
        .size:           8
        .value_kind:     global_buffer
      - .address_space:  global
        .offset:         64
        .size:           8
        .value_kind:     global_buffer
      - .address_space:  global
        .offset:         72
        .size:           8
        .value_kind:     global_buffer
      - .offset:         80
        .size:           8
        .value_kind:     by_value
      - .offset:         88
        .size:           8
        .value_kind:     by_value
      - .address_space:  global
        .offset:         96
        .size:           8
        .value_kind:     global_buffer
      - .offset:         104
        .size:           8
        .value_kind:     by_value
      - .offset:         112
        .size:           8
        .value_kind:     by_value
      - .offset:         120
        .size:           4
        .value_kind:     by_value
      - .offset:         124
        .size:           4
        .value_kind:     by_value
    .group_segment_fixed_size: 3072
    .kernarg_segment_align: 8
    .kernarg_segment_size: 128
    .language:       OpenCL C
    .language_version:
      - 2
      - 0
    .max_flat_workgroup_size: 256
    .name:           _ZN9rocsparse31csrmmnn_row_split_shared_kernelILj256ELj8E21rocsparse_complex_numIfEiiS2_S2_S2_EEvNS_24const_host_device_scalarIT1_EES5_bbbT3_S6_llPKT2_PKS6_PKT4_PKT5_llPT6_ll16rocsparse_order_21rocsparse_index_base_
    .private_segment_fixed_size: 0
    .sgpr_count:     30
    .sgpr_spill_count: 0
    .symbol:         _ZN9rocsparse31csrmmnn_row_split_shared_kernelILj256ELj8E21rocsparse_complex_numIfEiiS2_S2_S2_EEvNS_24const_host_device_scalarIT1_EES5_bbbT3_S6_llPKT2_PKS6_PKT4_PKT5_llPT6_ll16rocsparse_order_21rocsparse_index_base_.kd
    .uniform_work_group_size: 1
    .uses_dynamic_stack: false
    .vgpr_count:     46
    .vgpr_spill_count: 0
    .wavefront_size: 32
  - .args:
      - .offset:         0
        .size:           8
        .value_kind:     by_value
      - .offset:         8
        .size:           8
        .value_kind:     by_value
      - .offset:         16
        .size:           1
        .value_kind:     by_value
      - .offset:         17
        .size:           1
        .value_kind:     by_value
      - .offset:         18
        .size:           1
        .value_kind:     by_value
      - .offset:         20
        .size:           4
        .value_kind:     by_value
      - .offset:         24
        .size:           4
        .value_kind:     by_value
      - .offset:         32
        .size:           8
        .value_kind:     by_value
      - .offset:         40
        .size:           8
        .value_kind:     by_value
      - .address_space:  global
        .offset:         48
        .size:           8
        .value_kind:     global_buffer
      - .address_space:  global
        .offset:         56
        .size:           8
        .value_kind:     global_buffer
      - .address_space:  global
        .offset:         64
        .size:           8
        .value_kind:     global_buffer
      - .address_space:  global
        .offset:         72
        .size:           8
        .value_kind:     global_buffer
      - .offset:         80
        .size:           8
        .value_kind:     by_value
      - .offset:         88
        .size:           8
        .value_kind:     by_value
      - .address_space:  global
        .offset:         96
        .size:           8
        .value_kind:     global_buffer
      - .offset:         104
        .size:           8
        .value_kind:     by_value
      - .offset:         112
        .size:           8
        .value_kind:     by_value
      - .offset:         120
        .size:           4
        .value_kind:     by_value
      - .offset:         124
        .size:           4
        .value_kind:     by_value
    .group_segment_fixed_size: 3072
    .kernarg_segment_align: 8
    .kernarg_segment_size: 128
    .language:       OpenCL C
    .language_version:
      - 2
      - 0
    .max_flat_workgroup_size: 256
    .name:           _ZN9rocsparse31csrmmnn_row_split_shared_kernelILj256ELj8E21rocsparse_complex_numIfEliS2_S2_S2_EEvNS_24const_host_device_scalarIT1_EES5_bbbT3_S6_llPKT2_PKS6_PKT4_PKT5_llPT6_ll16rocsparse_order_21rocsparse_index_base_
    .private_segment_fixed_size: 0
    .sgpr_count:     30
    .sgpr_spill_count: 0
    .symbol:         _ZN9rocsparse31csrmmnn_row_split_shared_kernelILj256ELj8E21rocsparse_complex_numIfEliS2_S2_S2_EEvNS_24const_host_device_scalarIT1_EES5_bbbT3_S6_llPKT2_PKS6_PKT4_PKT5_llPT6_ll16rocsparse_order_21rocsparse_index_base_.kd
    .uniform_work_group_size: 1
    .uses_dynamic_stack: false
    .vgpr_count:     52
    .vgpr_spill_count: 0
    .wavefront_size: 32
  - .args:
      - .offset:         0
        .size:           8
        .value_kind:     by_value
      - .offset:         8
        .size:           8
        .value_kind:     by_value
      - .offset:         16
        .size:           1
        .value_kind:     by_value
      - .offset:         17
        .size:           1
        .value_kind:     by_value
      - .offset:         18
        .size:           1
        .value_kind:     by_value
      - .offset:         24
        .size:           8
        .value_kind:     by_value
      - .offset:         32
        .size:           8
        .value_kind:     by_value
      - .offset:         40
        .size:           8
        .value_kind:     by_value
      - .offset:         48
        .size:           8
        .value_kind:     by_value
      - .address_space:  global
        .offset:         56
        .size:           8
        .value_kind:     global_buffer
      - .address_space:  global
        .offset:         64
        .size:           8
        .value_kind:     global_buffer
      - .address_space:  global
        .offset:         72
        .size:           8
        .value_kind:     global_buffer
      - .address_space:  global
        .offset:         80
        .size:           8
        .value_kind:     global_buffer
      - .offset:         88
        .size:           8
        .value_kind:     by_value
      - .offset:         96
        .size:           8
        .value_kind:     by_value
      - .address_space:  global
        .offset:         104
        .size:           8
        .value_kind:     global_buffer
      - .offset:         112
        .size:           8
        .value_kind:     by_value
      - .offset:         120
        .size:           8
        .value_kind:     by_value
      - .offset:         128
        .size:           4
        .value_kind:     by_value
      - .offset:         132
        .size:           4
        .value_kind:     by_value
    .group_segment_fixed_size: 4096
    .kernarg_segment_align: 8
    .kernarg_segment_size: 136
    .language:       OpenCL C
    .language_version:
      - 2
      - 0
    .max_flat_workgroup_size: 256
    .name:           _ZN9rocsparse31csrmmnn_row_split_shared_kernelILj256ELj8E21rocsparse_complex_numIfEllS2_S2_S2_EEvNS_24const_host_device_scalarIT1_EES5_bbbT3_S6_llPKT2_PKS6_PKT4_PKT5_llPT6_ll16rocsparse_order_21rocsparse_index_base_
    .private_segment_fixed_size: 0
    .sgpr_count:     37
    .sgpr_spill_count: 0
    .symbol:         _ZN9rocsparse31csrmmnn_row_split_shared_kernelILj256ELj8E21rocsparse_complex_numIfEllS2_S2_S2_EEvNS_24const_host_device_scalarIT1_EES5_bbbT3_S6_llPKT2_PKS6_PKT4_PKT5_llPT6_ll16rocsparse_order_21rocsparse_index_base_.kd
    .uniform_work_group_size: 1
    .uses_dynamic_stack: false
    .vgpr_count:     54
    .vgpr_spill_count: 0
    .wavefront_size: 32
  - .args:
      - .offset:         0
        .size:           16
        .value_kind:     by_value
      - .offset:         16
        .size:           16
        .value_kind:     by_value
      - .offset:         32
        .size:           1
        .value_kind:     by_value
      - .offset:         33
        .size:           1
        .value_kind:     by_value
      - .offset:         34
        .size:           1
        .value_kind:     by_value
      - .offset:         36
        .size:           4
        .value_kind:     by_value
      - .offset:         40
        .size:           4
        .value_kind:     by_value
      - .offset:         48
        .size:           8
        .value_kind:     by_value
      - .offset:         56
        .size:           8
        .value_kind:     by_value
      - .address_space:  global
        .offset:         64
        .size:           8
        .value_kind:     global_buffer
      - .address_space:  global
        .offset:         72
        .size:           8
        .value_kind:     global_buffer
      - .address_space:  global
        .offset:         80
        .size:           8
        .value_kind:     global_buffer
      - .address_space:  global
        .offset:         88
        .size:           8
        .value_kind:     global_buffer
      - .offset:         96
        .size:           8
        .value_kind:     by_value
      - .offset:         104
        .size:           8
        .value_kind:     by_value
      - .address_space:  global
        .offset:         112
        .size:           8
        .value_kind:     global_buffer
      - .offset:         120
        .size:           8
        .value_kind:     by_value
      - .offset:         128
        .size:           8
        .value_kind:     by_value
      - .offset:         136
        .size:           4
        .value_kind:     by_value
      - .offset:         140
        .size:           4
        .value_kind:     by_value
    .group_segment_fixed_size: 5120
    .kernarg_segment_align: 8
    .kernarg_segment_size: 144
    .language:       OpenCL C
    .language_version:
      - 2
      - 0
    .max_flat_workgroup_size: 256
    .name:           _ZN9rocsparse31csrmmnn_row_split_shared_kernelILj256ELj8E21rocsparse_complex_numIdEiiS2_S2_S2_EEvNS_24const_host_device_scalarIT1_EES5_bbbT3_S6_llPKT2_PKS6_PKT4_PKT5_llPT6_ll16rocsparse_order_21rocsparse_index_base_
    .private_segment_fixed_size: 0
    .sgpr_count:     31
    .sgpr_spill_count: 0
    .symbol:         _ZN9rocsparse31csrmmnn_row_split_shared_kernelILj256ELj8E21rocsparse_complex_numIdEiiS2_S2_S2_EEvNS_24const_host_device_scalarIT1_EES5_bbbT3_S6_llPKT2_PKS6_PKT4_PKT5_llPT6_ll16rocsparse_order_21rocsparse_index_base_.kd
    .uniform_work_group_size: 1
    .uses_dynamic_stack: false
    .vgpr_count:     64
    .vgpr_spill_count: 0
    .wavefront_size: 32
  - .args:
      - .offset:         0
        .size:           16
        .value_kind:     by_value
      - .offset:         16
        .size:           16
        .value_kind:     by_value
      - .offset:         32
        .size:           1
        .value_kind:     by_value
      - .offset:         33
        .size:           1
        .value_kind:     by_value
      - .offset:         34
        .size:           1
        .value_kind:     by_value
      - .offset:         36
        .size:           4
        .value_kind:     by_value
      - .offset:         40
        .size:           4
        .value_kind:     by_value
      - .offset:         48
        .size:           8
        .value_kind:     by_value
      - .offset:         56
        .size:           8
        .value_kind:     by_value
      - .address_space:  global
        .offset:         64
        .size:           8
        .value_kind:     global_buffer
      - .address_space:  global
        .offset:         72
        .size:           8
        .value_kind:     global_buffer
      - .address_space:  global
        .offset:         80
        .size:           8
        .value_kind:     global_buffer
      - .address_space:  global
        .offset:         88
        .size:           8
        .value_kind:     global_buffer
      - .offset:         96
        .size:           8
        .value_kind:     by_value
      - .offset:         104
        .size:           8
        .value_kind:     by_value
      - .address_space:  global
        .offset:         112
        .size:           8
        .value_kind:     global_buffer
      - .offset:         120
        .size:           8
        .value_kind:     by_value
      - .offset:         128
        .size:           8
        .value_kind:     by_value
      - .offset:         136
        .size:           4
        .value_kind:     by_value
      - .offset:         140
        .size:           4
        .value_kind:     by_value
    .group_segment_fixed_size: 5120
    .kernarg_segment_align: 8
    .kernarg_segment_size: 144
    .language:       OpenCL C
    .language_version:
      - 2
      - 0
    .max_flat_workgroup_size: 256
    .name:           _ZN9rocsparse31csrmmnn_row_split_shared_kernelILj256ELj8E21rocsparse_complex_numIdEliS2_S2_S2_EEvNS_24const_host_device_scalarIT1_EES5_bbbT3_S6_llPKT2_PKS6_PKT4_PKT5_llPT6_ll16rocsparse_order_21rocsparse_index_base_
    .private_segment_fixed_size: 0
    .sgpr_count:     31
    .sgpr_spill_count: 0
    .symbol:         _ZN9rocsparse31csrmmnn_row_split_shared_kernelILj256ELj8E21rocsparse_complex_numIdEliS2_S2_S2_EEvNS_24const_host_device_scalarIT1_EES5_bbbT3_S6_llPKT2_PKS6_PKT4_PKT5_llPT6_ll16rocsparse_order_21rocsparse_index_base_.kd
    .uniform_work_group_size: 1
    .uses_dynamic_stack: false
    .vgpr_count:     68
    .vgpr_spill_count: 0
    .wavefront_size: 32
  - .args:
      - .offset:         0
        .size:           16
        .value_kind:     by_value
      - .offset:         16
        .size:           16
        .value_kind:     by_value
      - .offset:         32
        .size:           1
        .value_kind:     by_value
      - .offset:         33
        .size:           1
        .value_kind:     by_value
      - .offset:         34
        .size:           1
        .value_kind:     by_value
      - .offset:         40
        .size:           8
        .value_kind:     by_value
      - .offset:         48
        .size:           8
        .value_kind:     by_value
      - .offset:         56
        .size:           8
        .value_kind:     by_value
      - .offset:         64
        .size:           8
        .value_kind:     by_value
      - .address_space:  global
        .offset:         72
        .size:           8
        .value_kind:     global_buffer
      - .address_space:  global
        .offset:         80
        .size:           8
        .value_kind:     global_buffer
      - .address_space:  global
        .offset:         88
        .size:           8
        .value_kind:     global_buffer
      - .address_space:  global
        .offset:         96
        .size:           8
        .value_kind:     global_buffer
      - .offset:         104
        .size:           8
        .value_kind:     by_value
      - .offset:         112
        .size:           8
        .value_kind:     by_value
      - .address_space:  global
        .offset:         120
        .size:           8
        .value_kind:     global_buffer
      - .offset:         128
        .size:           8
        .value_kind:     by_value
      - .offset:         136
        .size:           8
        .value_kind:     by_value
      - .offset:         144
        .size:           4
        .value_kind:     by_value
      - .offset:         148
        .size:           4
        .value_kind:     by_value
    .group_segment_fixed_size: 6144
    .kernarg_segment_align: 8
    .kernarg_segment_size: 152
    .language:       OpenCL C
    .language_version:
      - 2
      - 0
    .max_flat_workgroup_size: 256
    .name:           _ZN9rocsparse31csrmmnn_row_split_shared_kernelILj256ELj8E21rocsparse_complex_numIdEllS2_S2_S2_EEvNS_24const_host_device_scalarIT1_EES5_bbbT3_S6_llPKT2_PKS6_PKT4_PKT5_llPT6_ll16rocsparse_order_21rocsparse_index_base_
    .private_segment_fixed_size: 0
    .sgpr_count:     37
    .sgpr_spill_count: 0
    .symbol:         _ZN9rocsparse31csrmmnn_row_split_shared_kernelILj256ELj8E21rocsparse_complex_numIdEllS2_S2_S2_EEvNS_24const_host_device_scalarIT1_EES5_bbbT3_S6_llPKT2_PKS6_PKT4_PKT5_llPT6_ll16rocsparse_order_21rocsparse_index_base_.kd
    .uniform_work_group_size: 1
    .uses_dynamic_stack: false
    .vgpr_count:     70
    .vgpr_spill_count: 0
    .wavefront_size: 32
  - .args:
      - .offset:         0
        .size:           8
        .value_kind:     by_value
      - .offset:         8
        .size:           8
        .value_kind:     by_value
      - .offset:         16
        .size:           1
        .value_kind:     by_value
      - .offset:         17
        .size:           1
        .value_kind:     by_value
      - .offset:         18
        .size:           1
        .value_kind:     by_value
      - .offset:         20
        .size:           4
        .value_kind:     by_value
      - .offset:         24
        .size:           4
        .value_kind:     by_value
      - .offset:         32
        .size:           8
        .value_kind:     by_value
      - .offset:         40
        .size:           8
        .value_kind:     by_value
      - .address_space:  global
        .offset:         48
        .size:           8
        .value_kind:     global_buffer
      - .address_space:  global
        .offset:         56
        .size:           8
        .value_kind:     global_buffer
      - .address_space:  global
        .offset:         64
        .size:           8
        .value_kind:     global_buffer
      - .address_space:  global
        .offset:         72
        .size:           8
        .value_kind:     global_buffer
      - .offset:         80
        .size:           8
        .value_kind:     by_value
      - .offset:         88
        .size:           8
        .value_kind:     by_value
      - .address_space:  global
        .offset:         96
        .size:           8
        .value_kind:     global_buffer
      - .offset:         104
        .size:           8
        .value_kind:     by_value
      - .offset:         112
        .size:           8
        .value_kind:     by_value
      - .offset:         120
        .size:           4
        .value_kind:     by_value
      - .offset:         124
        .size:           4
        .value_kind:     by_value
    .group_segment_fixed_size: 2048
    .kernarg_segment_align: 8
    .kernarg_segment_size: 128
    .language:       OpenCL C
    .language_version:
      - 2
      - 0
    .max_flat_workgroup_size: 256
    .name:           _ZN9rocsparse31csrmmnn_row_split_shared_kernelILj256ELj8EfiiDF16_DF16_fEEvNS_24const_host_device_scalarIT1_EES3_bbbT3_S4_llPKT2_PKS4_PKT4_PKT5_llPT6_ll16rocsparse_order_21rocsparse_index_base_
    .private_segment_fixed_size: 0
    .sgpr_count:     30
    .sgpr_spill_count: 0
    .symbol:         _ZN9rocsparse31csrmmnn_row_split_shared_kernelILj256ELj8EfiiDF16_DF16_fEEvNS_24const_host_device_scalarIT1_EES3_bbbT3_S4_llPKT2_PKS4_PKT4_PKT5_llPT6_ll16rocsparse_order_21rocsparse_index_base_.kd
    .uniform_work_group_size: 1
    .uses_dynamic_stack: false
    .vgpr_count:     32
    .vgpr_spill_count: 0
    .wavefront_size: 32
  - .args:
      - .offset:         0
        .size:           8
        .value_kind:     by_value
      - .offset:         8
        .size:           8
        .value_kind:     by_value
      - .offset:         16
        .size:           1
        .value_kind:     by_value
      - .offset:         17
        .size:           1
        .value_kind:     by_value
      - .offset:         18
        .size:           1
        .value_kind:     by_value
      - .offset:         20
        .size:           4
        .value_kind:     by_value
      - .offset:         24
        .size:           4
        .value_kind:     by_value
      - .offset:         32
        .size:           8
        .value_kind:     by_value
      - .offset:         40
        .size:           8
        .value_kind:     by_value
      - .address_space:  global
        .offset:         48
        .size:           8
        .value_kind:     global_buffer
      - .address_space:  global
        .offset:         56
        .size:           8
        .value_kind:     global_buffer
      - .address_space:  global
        .offset:         64
        .size:           8
        .value_kind:     global_buffer
      - .address_space:  global
        .offset:         72
        .size:           8
        .value_kind:     global_buffer
      - .offset:         80
        .size:           8
        .value_kind:     by_value
      - .offset:         88
        .size:           8
        .value_kind:     by_value
      - .address_space:  global
        .offset:         96
        .size:           8
        .value_kind:     global_buffer
      - .offset:         104
        .size:           8
        .value_kind:     by_value
      - .offset:         112
        .size:           8
        .value_kind:     by_value
      - .offset:         120
        .size:           4
        .value_kind:     by_value
      - .offset:         124
        .size:           4
        .value_kind:     by_value
    .group_segment_fixed_size: 2048
    .kernarg_segment_align: 8
    .kernarg_segment_size: 128
    .language:       OpenCL C
    .language_version:
      - 2
      - 0
    .max_flat_workgroup_size: 256
    .name:           _ZN9rocsparse31csrmmnn_row_split_shared_kernelILj256ELj8EfliDF16_DF16_fEEvNS_24const_host_device_scalarIT1_EES3_bbbT3_S4_llPKT2_PKS4_PKT4_PKT5_llPT6_ll16rocsparse_order_21rocsparse_index_base_
    .private_segment_fixed_size: 0
    .sgpr_count:     30
    .sgpr_spill_count: 0
    .symbol:         _ZN9rocsparse31csrmmnn_row_split_shared_kernelILj256ELj8EfliDF16_DF16_fEEvNS_24const_host_device_scalarIT1_EES3_bbbT3_S4_llPKT2_PKS4_PKT4_PKT5_llPT6_ll16rocsparse_order_21rocsparse_index_base_.kd
    .uniform_work_group_size: 1
    .uses_dynamic_stack: false
    .vgpr_count:     37
    .vgpr_spill_count: 0
    .wavefront_size: 32
  - .args:
      - .offset:         0
        .size:           8
        .value_kind:     by_value
      - .offset:         8
        .size:           8
        .value_kind:     by_value
      - .offset:         16
        .size:           1
        .value_kind:     by_value
      - .offset:         17
        .size:           1
        .value_kind:     by_value
      - .offset:         18
        .size:           1
        .value_kind:     by_value
      - .offset:         24
        .size:           8
        .value_kind:     by_value
      - .offset:         32
        .size:           8
        .value_kind:     by_value
      - .offset:         40
        .size:           8
        .value_kind:     by_value
      - .offset:         48
        .size:           8
        .value_kind:     by_value
      - .address_space:  global
        .offset:         56
        .size:           8
        .value_kind:     global_buffer
      - .address_space:  global
        .offset:         64
        .size:           8
        .value_kind:     global_buffer
      - .address_space:  global
        .offset:         72
        .size:           8
        .value_kind:     global_buffer
      - .address_space:  global
        .offset:         80
        .size:           8
        .value_kind:     global_buffer
      - .offset:         88
        .size:           8
        .value_kind:     by_value
      - .offset:         96
        .size:           8
        .value_kind:     by_value
      - .address_space:  global
        .offset:         104
        .size:           8
        .value_kind:     global_buffer
      - .offset:         112
        .size:           8
        .value_kind:     by_value
      - .offset:         120
        .size:           8
        .value_kind:     by_value
      - .offset:         128
        .size:           4
        .value_kind:     by_value
      - .offset:         132
        .size:           4
        .value_kind:     by_value
    .group_segment_fixed_size: 3072
    .kernarg_segment_align: 8
    .kernarg_segment_size: 136
    .language:       OpenCL C
    .language_version:
      - 2
      - 0
    .max_flat_workgroup_size: 256
    .name:           _ZN9rocsparse31csrmmnn_row_split_shared_kernelILj256ELj8EfllDF16_DF16_fEEvNS_24const_host_device_scalarIT1_EES3_bbbT3_S4_llPKT2_PKS4_PKT4_PKT5_llPT6_ll16rocsparse_order_21rocsparse_index_base_
    .private_segment_fixed_size: 0
    .sgpr_count:     42
    .sgpr_spill_count: 0
    .symbol:         _ZN9rocsparse31csrmmnn_row_split_shared_kernelILj256ELj8EfllDF16_DF16_fEEvNS_24const_host_device_scalarIT1_EES3_bbbT3_S4_llPKT2_PKS4_PKT4_PKT5_llPT6_ll16rocsparse_order_21rocsparse_index_base_.kd
    .uniform_work_group_size: 1
    .uses_dynamic_stack: false
    .vgpr_count:     39
    .vgpr_spill_count: 0
    .wavefront_size: 32
  - .args:
      - .offset:         0
        .size:           8
        .value_kind:     by_value
      - .offset:         8
        .size:           8
        .value_kind:     by_value
      - .offset:         16
        .size:           1
        .value_kind:     by_value
      - .offset:         17
        .size:           1
        .value_kind:     by_value
      - .offset:         18
        .size:           1
        .value_kind:     by_value
      - .offset:         20
        .size:           4
        .value_kind:     by_value
      - .offset:         24
        .size:           4
        .value_kind:     by_value
      - .offset:         32
        .size:           8
        .value_kind:     by_value
      - .offset:         40
        .size:           8
        .value_kind:     by_value
      - .address_space:  global
        .offset:         48
        .size:           8
        .value_kind:     global_buffer
      - .address_space:  global
        .offset:         56
        .size:           8
        .value_kind:     global_buffer
      - .address_space:  global
        .offset:         64
        .size:           8
        .value_kind:     global_buffer
      - .address_space:  global
        .offset:         72
        .size:           8
        .value_kind:     global_buffer
      - .offset:         80
        .size:           8
        .value_kind:     by_value
      - .offset:         88
        .size:           8
        .value_kind:     by_value
      - .address_space:  global
        .offset:         96
        .size:           8
        .value_kind:     global_buffer
      - .offset:         104
        .size:           8
        .value_kind:     by_value
      - .offset:         112
        .size:           8
        .value_kind:     by_value
      - .offset:         120
        .size:           4
        .value_kind:     by_value
      - .offset:         124
        .size:           4
        .value_kind:     by_value
    .group_segment_fixed_size: 2048
    .kernarg_segment_align: 8
    .kernarg_segment_size: 128
    .language:       OpenCL C
    .language_version:
      - 2
      - 0
    .max_flat_workgroup_size: 256
    .name:           _ZN9rocsparse31csrmmnn_row_split_shared_kernelILj256ELj8EiiiaaiEEvNS_24const_host_device_scalarIT1_EES3_bbbT3_S4_llPKT2_PKS4_PKT4_PKT5_llPT6_ll16rocsparse_order_21rocsparse_index_base_
    .private_segment_fixed_size: 0
    .sgpr_count:     30
    .sgpr_spill_count: 0
    .symbol:         _ZN9rocsparse31csrmmnn_row_split_shared_kernelILj256ELj8EiiiaaiEEvNS_24const_host_device_scalarIT1_EES3_bbbT3_S4_llPKT2_PKS4_PKT4_PKT5_llPT6_ll16rocsparse_order_21rocsparse_index_base_.kd
    .uniform_work_group_size: 1
    .uses_dynamic_stack: false
    .vgpr_count:     31
    .vgpr_spill_count: 0
    .wavefront_size: 32
  - .args:
      - .offset:         0
        .size:           8
        .value_kind:     by_value
      - .offset:         8
        .size:           8
        .value_kind:     by_value
      - .offset:         16
        .size:           1
        .value_kind:     by_value
      - .offset:         17
        .size:           1
        .value_kind:     by_value
      - .offset:         18
        .size:           1
        .value_kind:     by_value
      - .offset:         20
        .size:           4
        .value_kind:     by_value
      - .offset:         24
        .size:           4
        .value_kind:     by_value
      - .offset:         32
        .size:           8
        .value_kind:     by_value
      - .offset:         40
        .size:           8
        .value_kind:     by_value
      - .address_space:  global
        .offset:         48
        .size:           8
        .value_kind:     global_buffer
      - .address_space:  global
        .offset:         56
        .size:           8
        .value_kind:     global_buffer
      - .address_space:  global
        .offset:         64
        .size:           8
        .value_kind:     global_buffer
      - .address_space:  global
        .offset:         72
        .size:           8
        .value_kind:     global_buffer
      - .offset:         80
        .size:           8
        .value_kind:     by_value
      - .offset:         88
        .size:           8
        .value_kind:     by_value
      - .address_space:  global
        .offset:         96
        .size:           8
        .value_kind:     global_buffer
      - .offset:         104
        .size:           8
        .value_kind:     by_value
      - .offset:         112
        .size:           8
        .value_kind:     by_value
      - .offset:         120
        .size:           4
        .value_kind:     by_value
      - .offset:         124
        .size:           4
        .value_kind:     by_value
    .group_segment_fixed_size: 2048
    .kernarg_segment_align: 8
    .kernarg_segment_size: 128
    .language:       OpenCL C
    .language_version:
      - 2
      - 0
    .max_flat_workgroup_size: 256
    .name:           _ZN9rocsparse31csrmmnn_row_split_shared_kernelILj256ELj8EiliaaiEEvNS_24const_host_device_scalarIT1_EES3_bbbT3_S4_llPKT2_PKS4_PKT4_PKT5_llPT6_ll16rocsparse_order_21rocsparse_index_base_
    .private_segment_fixed_size: 0
    .sgpr_count:     30
    .sgpr_spill_count: 0
    .symbol:         _ZN9rocsparse31csrmmnn_row_split_shared_kernelILj256ELj8EiliaaiEEvNS_24const_host_device_scalarIT1_EES3_bbbT3_S4_llPKT2_PKS4_PKT4_PKT5_llPT6_ll16rocsparse_order_21rocsparse_index_base_.kd
    .uniform_work_group_size: 1
    .uses_dynamic_stack: false
    .vgpr_count:     37
    .vgpr_spill_count: 0
    .wavefront_size: 32
  - .args:
      - .offset:         0
        .size:           8
        .value_kind:     by_value
      - .offset:         8
        .size:           8
        .value_kind:     by_value
      - .offset:         16
        .size:           1
        .value_kind:     by_value
      - .offset:         17
        .size:           1
        .value_kind:     by_value
      - .offset:         18
        .size:           1
        .value_kind:     by_value
      - .offset:         24
        .size:           8
        .value_kind:     by_value
      - .offset:         32
        .size:           8
        .value_kind:     by_value
      - .offset:         40
        .size:           8
        .value_kind:     by_value
      - .offset:         48
        .size:           8
        .value_kind:     by_value
      - .address_space:  global
        .offset:         56
        .size:           8
        .value_kind:     global_buffer
      - .address_space:  global
        .offset:         64
        .size:           8
        .value_kind:     global_buffer
      - .address_space:  global
        .offset:         72
        .size:           8
        .value_kind:     global_buffer
      - .address_space:  global
        .offset:         80
        .size:           8
        .value_kind:     global_buffer
      - .offset:         88
        .size:           8
        .value_kind:     by_value
      - .offset:         96
        .size:           8
        .value_kind:     by_value
      - .address_space:  global
        .offset:         104
        .size:           8
        .value_kind:     global_buffer
      - .offset:         112
        .size:           8
        .value_kind:     by_value
      - .offset:         120
        .size:           8
        .value_kind:     by_value
      - .offset:         128
        .size:           4
        .value_kind:     by_value
      - .offset:         132
        .size:           4
        .value_kind:     by_value
    .group_segment_fixed_size: 3072
    .kernarg_segment_align: 8
    .kernarg_segment_size: 136
    .language:       OpenCL C
    .language_version:
      - 2
      - 0
    .max_flat_workgroup_size: 256
    .name:           _ZN9rocsparse31csrmmnn_row_split_shared_kernelILj256ELj8EillaaiEEvNS_24const_host_device_scalarIT1_EES3_bbbT3_S4_llPKT2_PKS4_PKT4_PKT5_llPT6_ll16rocsparse_order_21rocsparse_index_base_
    .private_segment_fixed_size: 0
    .sgpr_count:     38
    .sgpr_spill_count: 0
    .symbol:         _ZN9rocsparse31csrmmnn_row_split_shared_kernelILj256ELj8EillaaiEEvNS_24const_host_device_scalarIT1_EES3_bbbT3_S4_llPKT2_PKS4_PKT4_PKT5_llPT6_ll16rocsparse_order_21rocsparse_index_base_.kd
    .uniform_work_group_size: 1
    .uses_dynamic_stack: false
    .vgpr_count:     38
    .vgpr_spill_count: 0
    .wavefront_size: 32
  - .args:
      - .offset:         0
        .size:           8
        .value_kind:     by_value
      - .offset:         8
        .size:           8
        .value_kind:     by_value
      - .offset:         16
        .size:           1
        .value_kind:     by_value
      - .offset:         17
        .size:           1
        .value_kind:     by_value
      - .offset:         18
        .size:           1
        .value_kind:     by_value
      - .offset:         20
        .size:           4
        .value_kind:     by_value
      - .offset:         24
        .size:           4
        .value_kind:     by_value
      - .offset:         32
        .size:           8
        .value_kind:     by_value
      - .offset:         40
        .size:           8
        .value_kind:     by_value
      - .address_space:  global
        .offset:         48
        .size:           8
        .value_kind:     global_buffer
      - .address_space:  global
        .offset:         56
        .size:           8
        .value_kind:     global_buffer
      - .address_space:  global
        .offset:         64
        .size:           8
        .value_kind:     global_buffer
      - .address_space:  global
        .offset:         72
        .size:           8
        .value_kind:     global_buffer
      - .offset:         80
        .size:           8
        .value_kind:     by_value
      - .offset:         88
        .size:           8
        .value_kind:     by_value
      - .address_space:  global
        .offset:         96
        .size:           8
        .value_kind:     global_buffer
      - .offset:         104
        .size:           8
        .value_kind:     by_value
      - .offset:         112
        .size:           8
        .value_kind:     by_value
      - .offset:         120
        .size:           4
        .value_kind:     by_value
      - .offset:         124
        .size:           4
        .value_kind:     by_value
    .group_segment_fixed_size: 2048
    .kernarg_segment_align: 8
    .kernarg_segment_size: 128
    .language:       OpenCL C
    .language_version:
      - 2
      - 0
    .max_flat_workgroup_size: 256
    .name:           _ZN9rocsparse31csrmmnn_row_split_shared_kernelILj256ELj8EfiiaafEEvNS_24const_host_device_scalarIT1_EES3_bbbT3_S4_llPKT2_PKS4_PKT4_PKT5_llPT6_ll16rocsparse_order_21rocsparse_index_base_
    .private_segment_fixed_size: 0
    .sgpr_count:     30
    .sgpr_spill_count: 0
    .symbol:         _ZN9rocsparse31csrmmnn_row_split_shared_kernelILj256ELj8EfiiaafEEvNS_24const_host_device_scalarIT1_EES3_bbbT3_S4_llPKT2_PKS4_PKT4_PKT5_llPT6_ll16rocsparse_order_21rocsparse_index_base_.kd
    .uniform_work_group_size: 1
    .uses_dynamic_stack: false
    .vgpr_count:     32
    .vgpr_spill_count: 0
    .wavefront_size: 32
  - .args:
      - .offset:         0
        .size:           8
        .value_kind:     by_value
      - .offset:         8
        .size:           8
        .value_kind:     by_value
      - .offset:         16
        .size:           1
        .value_kind:     by_value
      - .offset:         17
        .size:           1
        .value_kind:     by_value
      - .offset:         18
        .size:           1
        .value_kind:     by_value
      - .offset:         20
        .size:           4
        .value_kind:     by_value
      - .offset:         24
        .size:           4
        .value_kind:     by_value
      - .offset:         32
        .size:           8
        .value_kind:     by_value
      - .offset:         40
        .size:           8
        .value_kind:     by_value
      - .address_space:  global
        .offset:         48
        .size:           8
        .value_kind:     global_buffer
      - .address_space:  global
        .offset:         56
        .size:           8
        .value_kind:     global_buffer
      - .address_space:  global
        .offset:         64
        .size:           8
        .value_kind:     global_buffer
      - .address_space:  global
        .offset:         72
        .size:           8
        .value_kind:     global_buffer
      - .offset:         80
        .size:           8
        .value_kind:     by_value
      - .offset:         88
        .size:           8
        .value_kind:     by_value
      - .address_space:  global
        .offset:         96
        .size:           8
        .value_kind:     global_buffer
      - .offset:         104
        .size:           8
        .value_kind:     by_value
      - .offset:         112
        .size:           8
        .value_kind:     by_value
      - .offset:         120
        .size:           4
        .value_kind:     by_value
      - .offset:         124
        .size:           4
        .value_kind:     by_value
    .group_segment_fixed_size: 2048
    .kernarg_segment_align: 8
    .kernarg_segment_size: 128
    .language:       OpenCL C
    .language_version:
      - 2
      - 0
    .max_flat_workgroup_size: 256
    .name:           _ZN9rocsparse31csrmmnn_row_split_shared_kernelILj256ELj8EfliaafEEvNS_24const_host_device_scalarIT1_EES3_bbbT3_S4_llPKT2_PKS4_PKT4_PKT5_llPT6_ll16rocsparse_order_21rocsparse_index_base_
    .private_segment_fixed_size: 0
    .sgpr_count:     30
    .sgpr_spill_count: 0
    .symbol:         _ZN9rocsparse31csrmmnn_row_split_shared_kernelILj256ELj8EfliaafEEvNS_24const_host_device_scalarIT1_EES3_bbbT3_S4_llPKT2_PKS4_PKT4_PKT5_llPT6_ll16rocsparse_order_21rocsparse_index_base_.kd
    .uniform_work_group_size: 1
    .uses_dynamic_stack: false
    .vgpr_count:     37
    .vgpr_spill_count: 0
    .wavefront_size: 32
  - .args:
      - .offset:         0
        .size:           8
        .value_kind:     by_value
      - .offset:         8
        .size:           8
        .value_kind:     by_value
      - .offset:         16
        .size:           1
        .value_kind:     by_value
      - .offset:         17
        .size:           1
        .value_kind:     by_value
      - .offset:         18
        .size:           1
        .value_kind:     by_value
      - .offset:         24
        .size:           8
        .value_kind:     by_value
      - .offset:         32
        .size:           8
        .value_kind:     by_value
      - .offset:         40
        .size:           8
        .value_kind:     by_value
      - .offset:         48
        .size:           8
        .value_kind:     by_value
      - .address_space:  global
        .offset:         56
        .size:           8
        .value_kind:     global_buffer
      - .address_space:  global
        .offset:         64
        .size:           8
        .value_kind:     global_buffer
      - .address_space:  global
        .offset:         72
        .size:           8
        .value_kind:     global_buffer
      - .address_space:  global
        .offset:         80
        .size:           8
        .value_kind:     global_buffer
      - .offset:         88
        .size:           8
        .value_kind:     by_value
      - .offset:         96
        .size:           8
        .value_kind:     by_value
      - .address_space:  global
        .offset:         104
        .size:           8
        .value_kind:     global_buffer
      - .offset:         112
        .size:           8
        .value_kind:     by_value
      - .offset:         120
        .size:           8
        .value_kind:     by_value
      - .offset:         128
        .size:           4
        .value_kind:     by_value
      - .offset:         132
        .size:           4
        .value_kind:     by_value
    .group_segment_fixed_size: 3072
    .kernarg_segment_align: 8
    .kernarg_segment_size: 136
    .language:       OpenCL C
    .language_version:
      - 2
      - 0
    .max_flat_workgroup_size: 256
    .name:           _ZN9rocsparse31csrmmnn_row_split_shared_kernelILj256ELj8EfllaafEEvNS_24const_host_device_scalarIT1_EES3_bbbT3_S4_llPKT2_PKS4_PKT4_PKT5_llPT6_ll16rocsparse_order_21rocsparse_index_base_
    .private_segment_fixed_size: 0
    .sgpr_count:     42
    .sgpr_spill_count: 0
    .symbol:         _ZN9rocsparse31csrmmnn_row_split_shared_kernelILj256ELj8EfllaafEEvNS_24const_host_device_scalarIT1_EES3_bbbT3_S4_llPKT2_PKS4_PKT4_PKT5_llPT6_ll16rocsparse_order_21rocsparse_index_base_.kd
    .uniform_work_group_size: 1
    .uses_dynamic_stack: false
    .vgpr_count:     39
    .vgpr_spill_count: 0
    .wavefront_size: 32
amdhsa.target:   amdgcn-amd-amdhsa--gfx1250
amdhsa.version:
  - 1
  - 2
...

	.end_amdgpu_metadata
